;; amdgpu-corpus repo=ROCm/rocFFT kind=compiled arch=gfx1201 opt=O3
	.text
	.amdgcn_target "amdgcn-amd-amdhsa--gfx1201"
	.amdhsa_code_object_version 6
	.protected	fft_rtc_back_len714_factors_3_17_7_2_wgs_51_tpt_51_halfLds_sp_op_CI_CI_unitstride_sbrr_R2C_dirReg ; -- Begin function fft_rtc_back_len714_factors_3_17_7_2_wgs_51_tpt_51_halfLds_sp_op_CI_CI_unitstride_sbrr_R2C_dirReg
	.globl	fft_rtc_back_len714_factors_3_17_7_2_wgs_51_tpt_51_halfLds_sp_op_CI_CI_unitstride_sbrr_R2C_dirReg
	.p2align	8
	.type	fft_rtc_back_len714_factors_3_17_7_2_wgs_51_tpt_51_halfLds_sp_op_CI_CI_unitstride_sbrr_R2C_dirReg,@function
fft_rtc_back_len714_factors_3_17_7_2_wgs_51_tpt_51_halfLds_sp_op_CI_CI_unitstride_sbrr_R2C_dirReg: ; @fft_rtc_back_len714_factors_3_17_7_2_wgs_51_tpt_51_halfLds_sp_op_CI_CI_unitstride_sbrr_R2C_dirReg
; %bb.0:
	s_clause 0x2
	s_load_b128 s[8:11], s[0:1], 0x0
	s_load_b128 s[4:7], s[0:1], 0x58
	;; [unrolled: 1-line block ×3, first 2 shown]
	v_mul_u32_u24_e32 v1, 0x506, v0
	v_mov_b32_e32 v3, 0
	s_delay_alu instid0(VALU_DEP_2) | instskip(NEXT) | instid1(VALU_DEP_1)
	v_lshrrev_b32_e32 v1, 16, v1
	v_add_nc_u32_e32 v5, ttmp9, v1
	v_mov_b32_e32 v1, 0
	v_mov_b32_e32 v2, 0
	;; [unrolled: 1-line block ×3, first 2 shown]
	s_wait_kmcnt 0x0
	v_cmp_lt_u64_e64 s2, s[10:11], 2
	s_delay_alu instid0(VALU_DEP_1)
	s_and_b32 vcc_lo, exec_lo, s2
	s_cbranch_vccnz .LBB0_8
; %bb.1:
	s_load_b64 s[2:3], s[0:1], 0x10
	v_mov_b32_e32 v1, 0
	v_mov_b32_e32 v2, 0
	s_add_nc_u64 s[16:17], s[14:15], 8
	s_add_nc_u64 s[18:19], s[12:13], 8
	s_mov_b64 s[20:21], 1
	s_delay_alu instid0(VALU_DEP_1)
	v_dual_mov_b32 v33, v2 :: v_dual_mov_b32 v32, v1
	s_wait_kmcnt 0x0
	s_add_nc_u64 s[22:23], s[2:3], 8
	s_mov_b32 s3, 0
.LBB0_2:                                ; =>This Inner Loop Header: Depth=1
	s_load_b64 s[24:25], s[22:23], 0x0
                                        ; implicit-def: $vgpr36_vgpr37
	s_mov_b32 s2, exec_lo
	s_wait_kmcnt 0x0
	v_or_b32_e32 v4, s25, v6
	s_delay_alu instid0(VALU_DEP_1)
	v_cmpx_ne_u64_e32 0, v[3:4]
	s_wait_alu 0xfffe
	s_xor_b32 s26, exec_lo, s2
	s_cbranch_execz .LBB0_4
; %bb.3:                                ;   in Loop: Header=BB0_2 Depth=1
	s_cvt_f32_u32 s2, s24
	s_cvt_f32_u32 s27, s25
	s_sub_nc_u64 s[30:31], 0, s[24:25]
	s_wait_alu 0xfffe
	s_delay_alu instid0(SALU_CYCLE_1) | instskip(SKIP_1) | instid1(SALU_CYCLE_2)
	s_fmamk_f32 s2, s27, 0x4f800000, s2
	s_wait_alu 0xfffe
	v_s_rcp_f32 s2, s2
	s_delay_alu instid0(TRANS32_DEP_1) | instskip(SKIP_1) | instid1(SALU_CYCLE_2)
	s_mul_f32 s2, s2, 0x5f7ffffc
	s_wait_alu 0xfffe
	s_mul_f32 s27, s2, 0x2f800000
	s_wait_alu 0xfffe
	s_delay_alu instid0(SALU_CYCLE_2) | instskip(SKIP_1) | instid1(SALU_CYCLE_2)
	s_trunc_f32 s27, s27
	s_wait_alu 0xfffe
	s_fmamk_f32 s2, s27, 0xcf800000, s2
	s_cvt_u32_f32 s29, s27
	s_wait_alu 0xfffe
	s_delay_alu instid0(SALU_CYCLE_1) | instskip(SKIP_1) | instid1(SALU_CYCLE_2)
	s_cvt_u32_f32 s28, s2
	s_wait_alu 0xfffe
	s_mul_u64 s[34:35], s[30:31], s[28:29]
	s_wait_alu 0xfffe
	s_mul_hi_u32 s37, s28, s35
	s_mul_i32 s36, s28, s35
	s_mul_hi_u32 s2, s28, s34
	s_mul_i32 s33, s29, s34
	s_wait_alu 0xfffe
	s_add_nc_u64 s[36:37], s[2:3], s[36:37]
	s_mul_hi_u32 s27, s29, s34
	s_mul_hi_u32 s38, s29, s35
	s_add_co_u32 s2, s36, s33
	s_wait_alu 0xfffe
	s_add_co_ci_u32 s2, s37, s27
	s_mul_i32 s34, s29, s35
	s_add_co_ci_u32 s35, s38, 0
	s_wait_alu 0xfffe
	s_add_nc_u64 s[34:35], s[2:3], s[34:35]
	s_wait_alu 0xfffe
	v_add_co_u32 v4, s2, s28, s34
	s_delay_alu instid0(VALU_DEP_1) | instskip(SKIP_1) | instid1(VALU_DEP_1)
	s_cmp_lg_u32 s2, 0
	s_add_co_ci_u32 s29, s29, s35
	v_readfirstlane_b32 s28, v4
	s_wait_alu 0xfffe
	s_delay_alu instid0(VALU_DEP_1)
	s_mul_u64 s[30:31], s[30:31], s[28:29]
	s_wait_alu 0xfffe
	s_mul_hi_u32 s35, s28, s31
	s_mul_i32 s34, s28, s31
	s_mul_hi_u32 s2, s28, s30
	s_mul_i32 s33, s29, s30
	s_wait_alu 0xfffe
	s_add_nc_u64 s[34:35], s[2:3], s[34:35]
	s_mul_hi_u32 s27, s29, s30
	s_mul_hi_u32 s28, s29, s31
	s_wait_alu 0xfffe
	s_add_co_u32 s2, s34, s33
	s_add_co_ci_u32 s2, s35, s27
	s_mul_i32 s30, s29, s31
	s_add_co_ci_u32 s31, s28, 0
	s_wait_alu 0xfffe
	s_add_nc_u64 s[30:31], s[2:3], s[30:31]
	s_wait_alu 0xfffe
	v_add_co_u32 v4, s2, v4, s30
	s_delay_alu instid0(VALU_DEP_1) | instskip(SKIP_1) | instid1(VALU_DEP_1)
	s_cmp_lg_u32 s2, 0
	s_add_co_ci_u32 s2, s29, s31
	v_mul_hi_u32 v13, v5, v4
	s_wait_alu 0xfffe
	v_mad_co_u64_u32 v[7:8], null, v5, s2, 0
	v_mad_co_u64_u32 v[9:10], null, v6, v4, 0
	;; [unrolled: 1-line block ×3, first 2 shown]
	s_delay_alu instid0(VALU_DEP_3) | instskip(SKIP_1) | instid1(VALU_DEP_4)
	v_add_co_u32 v4, vcc_lo, v13, v7
	s_wait_alu 0xfffd
	v_add_co_ci_u32_e32 v7, vcc_lo, 0, v8, vcc_lo
	s_delay_alu instid0(VALU_DEP_2) | instskip(SKIP_1) | instid1(VALU_DEP_2)
	v_add_co_u32 v4, vcc_lo, v4, v9
	s_wait_alu 0xfffd
	v_add_co_ci_u32_e32 v4, vcc_lo, v7, v10, vcc_lo
	s_wait_alu 0xfffd
	v_add_co_ci_u32_e32 v7, vcc_lo, 0, v12, vcc_lo
	s_delay_alu instid0(VALU_DEP_2) | instskip(SKIP_1) | instid1(VALU_DEP_2)
	v_add_co_u32 v4, vcc_lo, v4, v11
	s_wait_alu 0xfffd
	v_add_co_ci_u32_e32 v9, vcc_lo, 0, v7, vcc_lo
	s_delay_alu instid0(VALU_DEP_2) | instskip(SKIP_1) | instid1(VALU_DEP_3)
	v_mul_lo_u32 v10, s25, v4
	v_mad_co_u64_u32 v[7:8], null, s24, v4, 0
	v_mul_lo_u32 v11, s24, v9
	s_delay_alu instid0(VALU_DEP_2) | instskip(NEXT) | instid1(VALU_DEP_2)
	v_sub_co_u32 v7, vcc_lo, v5, v7
	v_add3_u32 v8, v8, v11, v10
	s_delay_alu instid0(VALU_DEP_1) | instskip(SKIP_1) | instid1(VALU_DEP_1)
	v_sub_nc_u32_e32 v10, v6, v8
	s_wait_alu 0xfffd
	v_subrev_co_ci_u32_e64 v10, s2, s25, v10, vcc_lo
	v_add_co_u32 v11, s2, v4, 2
	s_wait_alu 0xf1ff
	v_add_co_ci_u32_e64 v12, s2, 0, v9, s2
	v_sub_co_u32 v13, s2, v7, s24
	v_sub_co_ci_u32_e32 v8, vcc_lo, v6, v8, vcc_lo
	s_wait_alu 0xf1ff
	v_subrev_co_ci_u32_e64 v10, s2, 0, v10, s2
	s_delay_alu instid0(VALU_DEP_3) | instskip(NEXT) | instid1(VALU_DEP_3)
	v_cmp_le_u32_e32 vcc_lo, s24, v13
	v_cmp_eq_u32_e64 s2, s25, v8
	s_wait_alu 0xfffd
	v_cndmask_b32_e64 v13, 0, -1, vcc_lo
	v_cmp_le_u32_e32 vcc_lo, s25, v10
	s_wait_alu 0xfffd
	v_cndmask_b32_e64 v14, 0, -1, vcc_lo
	v_cmp_le_u32_e32 vcc_lo, s24, v7
	;; [unrolled: 3-line block ×3, first 2 shown]
	s_wait_alu 0xfffd
	v_cndmask_b32_e64 v15, 0, -1, vcc_lo
	v_cmp_eq_u32_e32 vcc_lo, s25, v10
	s_wait_alu 0xf1ff
	s_delay_alu instid0(VALU_DEP_2)
	v_cndmask_b32_e64 v7, v15, v7, s2
	s_wait_alu 0xfffd
	v_cndmask_b32_e32 v10, v14, v13, vcc_lo
	v_add_co_u32 v13, vcc_lo, v4, 1
	s_wait_alu 0xfffd
	v_add_co_ci_u32_e32 v14, vcc_lo, 0, v9, vcc_lo
	s_delay_alu instid0(VALU_DEP_3) | instskip(SKIP_1) | instid1(VALU_DEP_2)
	v_cmp_ne_u32_e32 vcc_lo, 0, v10
	s_wait_alu 0xfffd
	v_cndmask_b32_e32 v8, v14, v12, vcc_lo
	v_cndmask_b32_e32 v10, v13, v11, vcc_lo
	v_cmp_ne_u32_e32 vcc_lo, 0, v7
	s_wait_alu 0xfffd
	s_delay_alu instid0(VALU_DEP_2)
	v_dual_cndmask_b32 v37, v9, v8 :: v_dual_cndmask_b32 v36, v4, v10
.LBB0_4:                                ;   in Loop: Header=BB0_2 Depth=1
	s_wait_alu 0xfffe
	s_and_not1_saveexec_b32 s2, s26
	s_cbranch_execz .LBB0_6
; %bb.5:                                ;   in Loop: Header=BB0_2 Depth=1
	v_cvt_f32_u32_e32 v4, s24
	s_sub_co_i32 s26, 0, s24
	v_mov_b32_e32 v37, v3
	s_delay_alu instid0(VALU_DEP_2) | instskip(NEXT) | instid1(TRANS32_DEP_1)
	v_rcp_iflag_f32_e32 v4, v4
	v_mul_f32_e32 v4, 0x4f7ffffe, v4
	s_delay_alu instid0(VALU_DEP_1) | instskip(SKIP_1) | instid1(VALU_DEP_1)
	v_cvt_u32_f32_e32 v4, v4
	s_wait_alu 0xfffe
	v_mul_lo_u32 v7, s26, v4
	s_delay_alu instid0(VALU_DEP_1) | instskip(NEXT) | instid1(VALU_DEP_1)
	v_mul_hi_u32 v7, v4, v7
	v_add_nc_u32_e32 v4, v4, v7
	s_delay_alu instid0(VALU_DEP_1) | instskip(NEXT) | instid1(VALU_DEP_1)
	v_mul_hi_u32 v4, v5, v4
	v_mul_lo_u32 v7, v4, s24
	v_add_nc_u32_e32 v8, 1, v4
	s_delay_alu instid0(VALU_DEP_2) | instskip(NEXT) | instid1(VALU_DEP_1)
	v_sub_nc_u32_e32 v7, v5, v7
	v_subrev_nc_u32_e32 v9, s24, v7
	v_cmp_le_u32_e32 vcc_lo, s24, v7
	s_wait_alu 0xfffd
	s_delay_alu instid0(VALU_DEP_2) | instskip(NEXT) | instid1(VALU_DEP_1)
	v_dual_cndmask_b32 v7, v7, v9 :: v_dual_cndmask_b32 v4, v4, v8
	v_cmp_le_u32_e32 vcc_lo, s24, v7
	s_delay_alu instid0(VALU_DEP_2) | instskip(SKIP_1) | instid1(VALU_DEP_1)
	v_add_nc_u32_e32 v8, 1, v4
	s_wait_alu 0xfffd
	v_cndmask_b32_e32 v36, v4, v8, vcc_lo
.LBB0_6:                                ;   in Loop: Header=BB0_2 Depth=1
	s_wait_alu 0xfffe
	s_or_b32 exec_lo, exec_lo, s2
	v_mul_lo_u32 v4, v37, s24
	s_delay_alu instid0(VALU_DEP_2)
	v_mul_lo_u32 v9, v36, s25
	s_load_b64 s[26:27], s[18:19], 0x0
	v_mad_co_u64_u32 v[7:8], null, v36, s24, 0
	s_load_b64 s[24:25], s[16:17], 0x0
	s_add_nc_u64 s[20:21], s[20:21], 1
	s_add_nc_u64 s[16:17], s[16:17], 8
	s_wait_alu 0xfffe
	v_cmp_ge_u64_e64 s2, s[20:21], s[10:11]
	s_add_nc_u64 s[18:19], s[18:19], 8
	s_add_nc_u64 s[22:23], s[22:23], 8
	v_add3_u32 v4, v8, v9, v4
	v_sub_co_u32 v5, vcc_lo, v5, v7
	s_wait_alu 0xfffd
	s_delay_alu instid0(VALU_DEP_2) | instskip(SKIP_2) | instid1(VALU_DEP_1)
	v_sub_co_ci_u32_e32 v4, vcc_lo, v6, v4, vcc_lo
	s_and_b32 vcc_lo, exec_lo, s2
	s_wait_kmcnt 0x0
	v_mul_lo_u32 v6, s26, v4
	v_mul_lo_u32 v7, s27, v5
	v_mad_co_u64_u32 v[1:2], null, s26, v5, v[1:2]
	v_mul_lo_u32 v4, s24, v4
	v_mul_lo_u32 v8, s25, v5
	v_mad_co_u64_u32 v[32:33], null, s24, v5, v[32:33]
	s_delay_alu instid0(VALU_DEP_4) | instskip(NEXT) | instid1(VALU_DEP_2)
	v_add3_u32 v2, v7, v2, v6
	v_add3_u32 v33, v8, v33, v4
	s_wait_alu 0xfffe
	s_cbranch_vccnz .LBB0_9
; %bb.7:                                ;   in Loop: Header=BB0_2 Depth=1
	v_dual_mov_b32 v5, v36 :: v_dual_mov_b32 v6, v37
	s_branch .LBB0_2
.LBB0_8:
	v_dual_mov_b32 v33, v2 :: v_dual_mov_b32 v32, v1
	v_dual_mov_b32 v37, v6 :: v_dual_mov_b32 v36, v5
.LBB0_9:
	s_load_b64 s[0:1], s[0:1], 0x28
	v_mul_hi_u32 v3, 0x5050506, v0
	s_lshl_b64 s[10:11], s[10:11], 3
                                        ; implicit-def: $vgpr34
                                        ; implicit-def: $vgpr40
                                        ; implicit-def: $vgpr42
                                        ; implicit-def: $vgpr38
                                        ; implicit-def: $vgpr44
	s_wait_kmcnt 0x0
	v_cmp_gt_u64_e32 vcc_lo, s[0:1], v[36:37]
	v_cmp_le_u64_e64 s0, s[0:1], v[36:37]
	s_delay_alu instid0(VALU_DEP_1)
	s_and_saveexec_b32 s1, s0
	s_wait_alu 0xfffe
	s_xor_b32 s0, exec_lo, s1
; %bb.10:
	v_mul_u32_u24_e32 v1, 51, v3
                                        ; implicit-def: $vgpr3
	s_delay_alu instid0(VALU_DEP_1) | instskip(NEXT) | instid1(VALU_DEP_1)
	v_sub_nc_u32_e32 v34, v0, v1
                                        ; implicit-def: $vgpr0
                                        ; implicit-def: $vgpr1_vgpr2
	v_add_nc_u32_e32 v40, 51, v34
	v_add_nc_u32_e32 v42, 0x66, v34
	;; [unrolled: 1-line block ×4, first 2 shown]
; %bb.11:
	s_wait_alu 0xfffe
	s_or_saveexec_b32 s1, s0
	s_add_nc_u64 s[2:3], s[14:15], s[10:11]
	s_wait_alu 0xfffe
	s_xor_b32 exec_lo, exec_lo, s1
	s_cbranch_execz .LBB0_13
; %bb.12:
	s_add_nc_u64 s[10:11], s[12:13], s[10:11]
	v_lshlrev_b64_e32 v[1:2], 3, v[1:2]
	s_load_b64 s[10:11], s[10:11], 0x0
	s_wait_kmcnt 0x0
	v_mul_lo_u32 v6, s11, v36
	v_mul_lo_u32 v7, s10, v37
	v_mad_co_u64_u32 v[4:5], null, s10, v36, 0
	s_delay_alu instid0(VALU_DEP_1) | instskip(SKIP_1) | instid1(VALU_DEP_2)
	v_add3_u32 v5, v5, v7, v6
	v_mul_u32_u24_e32 v6, 51, v3
	v_lshlrev_b64_e32 v[3:4], 3, v[4:5]
	s_delay_alu instid0(VALU_DEP_2) | instskip(NEXT) | instid1(VALU_DEP_1)
	v_sub_nc_u32_e32 v34, v0, v6
	v_lshlrev_b32_e32 v28, 3, v34
	s_delay_alu instid0(VALU_DEP_3) | instskip(SKIP_1) | instid1(VALU_DEP_4)
	v_add_co_u32 v0, s0, s4, v3
	s_wait_alu 0xf1ff
	v_add_co_ci_u32_e64 v3, s0, s5, v4, s0
	v_add_nc_u32_e32 v40, 51, v34
	s_delay_alu instid0(VALU_DEP_3) | instskip(SKIP_1) | instid1(VALU_DEP_3)
	v_add_co_u32 v0, s0, v0, v1
	s_wait_alu 0xf1ff
	v_add_co_ci_u32_e64 v1, s0, v3, v2, s0
	v_add_nc_u32_e32 v42, 0x66, v34
	s_delay_alu instid0(VALU_DEP_3) | instskip(SKIP_1) | instid1(VALU_DEP_3)
	v_add_co_u32 v0, s0, v0, v28
	s_wait_alu 0xf1ff
	v_add_co_ci_u32_e64 v1, s0, 0, v1, s0
	s_clause 0xd
	global_load_b64 v[2:3], v[0:1], off
	global_load_b64 v[4:5], v[0:1], off offset:408
	global_load_b64 v[6:7], v[0:1], off offset:816
	;; [unrolled: 1-line block ×13, first 2 shown]
	v_add_nc_u32_e32 v28, 0, v28
	v_add_nc_u32_e32 v38, 0x99, v34
	;; [unrolled: 1-line block ×3, first 2 shown]
	s_delay_alu instid0(VALU_DEP_3)
	v_add_nc_u32_e32 v29, 0x800, v28
	v_add_nc_u32_e32 v30, 0xc00, v28
	;; [unrolled: 1-line block ×3, first 2 shown]
	s_wait_loadcnt 0xc
	ds_store_2addr_b64 v28, v[2:3], v[4:5] offset1:51
	s_wait_loadcnt 0xa
	ds_store_2addr_b64 v28, v[6:7], v[8:9] offset0:102 offset1:153
	s_wait_loadcnt 0x8
	ds_store_2addr_b64 v28, v[10:11], v[12:13] offset0:204 offset1:255
	;; [unrolled: 2-line block ×6, first 2 shown]
.LBB0_13:
	s_or_b32 exec_lo, exec_lo, s1
	v_lshl_add_u32 v49, v34, 3, 0
	s_load_b64 s[2:3], s[2:3], 0x0
	global_wb scope:SCOPE_SE
	s_wait_dscnt 0x0
	s_wait_kmcnt 0x0
	s_barrier_signal -1
	s_barrier_wait -1
	global_inv scope:SCOPE_SE
	ds_load_2addr_b64 v[4:7], v49 offset1:51
	ds_load_2addr_b64 v[12:15], v49 offset0:204 offset1:238
	v_add_nc_u32_e32 v0, 0xc00, v49
	v_add_nc_u32_e32 v1, 0x1000, v49
	ds_load_2addr_b64 v[8:11], v49 offset0:102 offset1:153
	s_mov_b32 s1, exec_lo
	ds_load_2addr_b64 v[16:19], v0 offset0:92 offset1:143
	v_add_nc_u32_e32 v0, 0x800, v49
	ds_load_2addr_b64 v[20:23], v0 offset0:33 offset1:84
	s_wait_dscnt 0x3
	v_add_f32_e32 v2, v4, v14
	ds_load_b64 v[30:31], v49 offset:5440
	ds_load_2addr_b64 v[26:29], v1 offset0:66 offset1:117
	v_add_f32_e32 v1, v5, v15
	s_wait_dscnt 0x3
	v_sub_f32_e32 v3, v15, v17
	v_add_f32_e32 v15, v15, v17
	s_delay_alu instid0(VALU_DEP_3)
	v_add_f32_e32 v1, v1, v17
	s_wait_dscnt 0x2
	v_add_f32_e32 v25, v20, v18
	ds_load_2addr_b64 v[50:53], v0 offset0:135 offset1:186
	v_add_f32_e32 v0, v2, v16
	v_add_f32_e32 v2, v14, v16
	v_sub_f32_e32 v14, v14, v16
	v_dual_add_f32 v24, v6, v20 :: v_dual_sub_f32 v35, v21, v19
	v_dual_add_f32 v39, v7, v21 :: v_dual_sub_f32 v20, v20, v18
	v_add_f32_e32 v21, v21, v19
	v_fma_f32 v16, -0.5, v2, v4
	s_delay_alu instid0(VALU_DEP_4) | instskip(SKIP_2) | instid1(VALU_DEP_4)
	v_add_f32_e32 v4, v24, v18
	v_fma_f32 v17, -0.5, v15, v5
	v_fma_f32 v6, -0.5, v25, v6
	v_dual_fmac_f32 v7, -0.5, v21 :: v_dual_fmamk_f32 v2, v3, 0xbf5db3d7, v16
	s_delay_alu instid0(VALU_DEP_3)
	v_dual_fmac_f32 v16, 0x3f5db3d7, v3 :: v_dual_fmamk_f32 v3, v14, 0x3f5db3d7, v17
	s_wait_dscnt 0x1
	v_dual_fmac_f32 v17, 0xbf5db3d7, v14 :: v_dual_add_f32 v18, v23, v27
	v_dual_fmamk_f32 v45, v35, 0xbf5db3d7, v6 :: v_dual_add_f32 v14, v22, v26
	v_dual_fmac_f32 v6, 0x3f5db3d7, v35 :: v_dual_add_f32 v15, v8, v22
	v_dual_add_f32 v5, v39, v19 :: v_dual_fmamk_f32 v46, v20, 0x3f5db3d7, v7
	v_fmac_f32_e32 v7, 0xbf5db3d7, v20
	s_delay_alu instid0(VALU_DEP_4)
	v_fma_f32 v20, -0.5, v14, v8
	v_sub_f32_e32 v8, v23, v27
	v_add_f32_e32 v14, v9, v23
	v_fma_f32 v21, -0.5, v18, v9
	v_sub_f32_e32 v9, v22, v26
	v_add_f32_e32 v24, v15, v26
	v_fmamk_f32 v26, v8, 0xbf5db3d7, v20
	v_fmac_f32_e32 v20, 0x3f5db3d7, v8
	s_wait_dscnt 0x0
	v_add_f32_e32 v8, v50, v28
	v_add_f32_e32 v25, v14, v27
	v_dual_fmamk_f32 v27, v9, 0x3f5db3d7, v21 :: v_dual_add_f32 v14, v10, v50
	v_sub_f32_e32 v15, v51, v29
	v_fmac_f32_e32 v21, 0xbf5db3d7, v9
	v_add_f32_e32 v9, v51, v29
	v_fma_f32 v10, -0.5, v8, v10
	v_add_f32_e32 v22, v14, v28
	v_dual_sub_f32 v18, v50, v28 :: v_dual_add_f32 v19, v13, v53
	global_wb scope:SCOPE_SE
	v_fmamk_f32 v8, v15, 0xbf5db3d7, v10
	v_fmac_f32_e32 v10, 0x3f5db3d7, v15
	v_add_f32_e32 v15, v53, v31
	v_dual_add_f32 v14, v11, v51 :: v_dual_fmac_f32 v11, -0.5, v9
	s_barrier_signal -1
	s_barrier_wait -1
	s_delay_alu instid0(VALU_DEP_2)
	v_fmac_f32_e32 v13, -0.5, v15
	v_sub_f32_e32 v15, v52, v30
	v_fmamk_f32 v9, v18, 0x3f5db3d7, v11
	v_dual_add_f32 v23, v14, v29 :: v_dual_add_f32 v14, v52, v30
	v_dual_fmac_f32 v11, 0xbf5db3d7, v18 :: v_dual_add_f32 v18, v12, v52
	v_add_f32_e32 v29, v19, v31
	global_inv scope:SCOPE_SE
	v_fma_f32 v12, -0.5, v14, v12
	v_sub_f32_e32 v14, v53, v31
	v_dual_add_f32 v28, v18, v30 :: v_dual_fmamk_f32 v31, v15, 0x3f5db3d7, v13
	v_fmac_f32_e32 v13, 0xbf5db3d7, v15
	v_mad_i32_i24 v15, v40, 24, 0
	s_delay_alu instid0(VALU_DEP_4)
	v_fmamk_f32 v30, v14, 0xbf5db3d7, v12
	v_fmac_f32_e32 v12, 0x3f5db3d7, v14
	v_lshl_add_u32 v14, v34, 4, v49
	ds_store_2addr_b64 v14, v[0:1], v[2:3] offset1:1
	ds_store_b64 v14, v[16:17] offset:16
	v_mad_i32_i24 v14, v42, 24, 0
	v_mad_i32_i24 v18, v38, 24, 0
	ds_store_2addr_b64 v15, v[4:5], v[45:46] offset1:1
	ds_store_b64 v15, v[6:7] offset:16
	ds_store_2addr_b64 v14, v[24:25], v[26:27] offset1:1
	ds_store_b64 v14, v[20:21] offset:16
	;; [unrolled: 2-line block ×3, first 2 shown]
	v_cmpx_gt_u32_e32 34, v34
	s_cbranch_execz .LBB0_15
; %bb.14:
	v_mad_i32_i24 v14, v44, 24, 0
	ds_store_2addr_b64 v14, v[28:29], v[30:31] offset1:1
	ds_store_b64 v14, v[12:13] offset:16
.LBB0_15:
	s_wait_alu 0xfffe
	s_or_b32 exec_lo, exec_lo, s1
	v_cmp_gt_u32_e64 s0, 42, v34
	global_wb scope:SCOPE_SE
	s_wait_dscnt 0x0
	s_barrier_signal -1
	s_barrier_wait -1
	global_inv scope:SCOPE_SE
                                        ; implicit-def: $vgpr48
	s_and_saveexec_b32 s1, s0
	s_cbranch_execz .LBB0_17
; %bb.16:
	v_add_nc_u32_e32 v0, 0x800, v49
	v_add_nc_u32_e32 v14, 0x1000, v49
	ds_load_2addr_b64 v[4:7], v49 offset0:168 offset1:210
	ds_load_2addr_b64 v[16:19], v49 offset0:84 offset1:126
	;; [unrolled: 1-line block ×3, first 2 shown]
	v_add_nc_u32_e32 v12, 0x400, v49
	s_wait_dscnt 0x2
	v_dual_mov_b32 v46, v5 :: v_dual_add_nc_u32 v13, 0xc00, v49
	v_mov_b32_e32 v45, v4
	ds_load_2addr_b64 v[8:11], v0 offset0:164 offset1:206
	s_wait_dscnt 0x2
	v_mov_b32_e32 v5, v19
	ds_load_2addr_b64 v[0:3], v49 offset1:42
	ds_load_b64 v[47:48], v49 offset:5376
	ds_load_2addr_b64 v[24:27], v12 offset0:124 offset1:166
	ds_load_2addr_b64 v[28:31], v13 offset0:120 offset1:162
	;; [unrolled: 1-line block ×3, first 2 shown]
	v_mov_b32_e32 v4, v18
.LBB0_17:
	s_wait_alu 0xfffe
	s_or_b32 exec_lo, exec_lo, s1
	global_wb scope:SCOPE_SE
	s_wait_dscnt 0x0
	s_barrier_signal -1
	s_barrier_wait -1
	global_inv scope:SCOPE_SE
	s_and_saveexec_b32 s1, s0
	s_cbranch_execz .LBB0_19
; %bb.18:
	v_and_b32_e32 v18, 0xff, v34
	s_delay_alu instid0(VALU_DEP_1) | instskip(NEXT) | instid1(VALU_DEP_1)
	v_mul_lo_u16 v18, 0xab, v18
	v_lshrrev_b16 v39, 9, v18
	s_delay_alu instid0(VALU_DEP_1) | instskip(NEXT) | instid1(VALU_DEP_1)
	v_mul_lo_u16 v18, v39, 3
	v_sub_nc_u16 v18, v34, v18
	s_delay_alu instid0(VALU_DEP_1) | instskip(NEXT) | instid1(VALU_DEP_1)
	v_and_b32_e32 v35, 0xff, v18
	v_lshlrev_b32_e32 v18, 7, v35
	s_clause 0x7
	global_load_b128 v[63:66], v18, s[8:9]
	global_load_b128 v[68:71], v18, s[8:9] offset:112
	global_load_b128 v[72:75], v18, s[8:9] offset:16
	;; [unrolled: 1-line block ×7, first 2 shown]
	s_wait_loadcnt 0x7
	v_mul_f32_e32 v19, v2, v64
	s_wait_loadcnt 0x6
	v_dual_mul_f32 v55, v3, v64 :: v_dual_mul_f32 v50, v48, v71
	v_dual_mul_f32 v18, v47, v71 :: v_dual_mul_f32 v41, v14, v69
	;; [unrolled: 1-line block ×3, first 2 shown]
	s_wait_loadcnt 0x5
	v_dual_mul_f32 v43, v16, v66 :: v_dual_mul_f32 v58, v5, v73
	s_wait_loadcnt 0x4
	v_dual_mul_f32 v52, v13, v79 :: v_dual_mul_f32 v71, v4, v73
	;; [unrolled: 2-line block ×4, first 2 shown]
	v_dual_mul_f32 v73, v30, v77 :: v_dual_mul_f32 v62, v25, v84
	v_mul_f32_e32 v75, v45, v75
	v_dual_mul_f32 v53, v31, v77 :: v_dual_mul_f32 v82, v6, v82
	s_wait_loadcnt 0x1
	v_dual_mul_f32 v77, v28, v88 :: v_dual_mul_f32 v64, v27, v90
	v_dual_mul_f32 v57, v11, v86 :: v_dual_mul_f32 v88, v24, v84
	s_wait_loadcnt 0x0
	v_dual_mul_f32 v86, v10, v86 :: v_dual_mul_f32 v61, v9, v96
	v_mul_f32_e32 v90, v26, v90
	v_dual_mul_f32 v96, v8, v96 :: v_dual_fmac_f32 v55, v2, v63
	v_dual_mul_f32 v67, v21, v92 :: v_dual_mul_f32 v66, v23, v94
	s_delay_alu instid0(VALU_DEP_4)
	v_dual_mul_f32 v94, v22, v94 :: v_dual_fmac_f32 v61, v8, v95
	v_dual_mul_f32 v92, v20, v92 :: v_dual_fmac_f32 v59, v45, v74
	v_dual_fmac_f32 v56, v16, v65 :: v_dual_fmac_f32 v51, v14, v68
	v_fma_f32 v79, v17, v65, -v43
	v_fma_f32 v84, v3, v63, -v19
	v_dual_fmac_f32 v50, v47, v70 :: v_dual_fmac_f32 v53, v30, v76
	v_fma_f32 v47, v48, v70, -v18
	v_fma_f32 v48, v15, v68, -v41
	;; [unrolled: 3-line block ×3, first 2 shown]
	v_fma_f32 v78, v46, v74, -v75
	v_dual_fmac_f32 v60, v6, v81 :: v_dual_fmac_f32 v67, v20, v91
	v_dual_fmac_f32 v54, v28, v87 :: v_dual_add_f32 v19, v79, v48
	v_fma_f32 v80, v5, v72, -v71
	v_fma_f32 v68, v29, v87, -v77
	;; [unrolled: 1-line block ×5, first 2 shown]
	v_fmac_f32_e32 v58, v4, v72
	v_fmac_f32_e32 v64, v26, v89
	v_fma_f32 v71, v23, v93, -v94
	v_sub_f32_e32 v23, v60, v54
	v_fma_f32 v72, v21, v91, -v92
	s_delay_alu instid0(VALU_DEP_4)
	v_dual_sub_f32 v46, v55, v50 :: v_dual_sub_f32 v21, v64, v61
	v_dual_add_f32 v16, v78, v65 :: v_dual_sub_f32 v91, v84, v47
	v_fma_f32 v70, v9, v95, -v96
	v_fma_f32 v74, v27, v89, -v90
	v_dual_add_f32 v94, v84, v47 :: v_dual_add_f32 v45, v55, v50
	v_dual_add_f32 v81, v75, v69 :: v_dual_fmac_f32 v62, v24, v83
	v_sub_f32_e32 v25, v58, v52
	s_delay_alu instid0(VALU_DEP_4)
	v_dual_sub_f32 v90, v79, v48 :: v_dual_sub_f32 v83, v74, v70
	v_dual_sub_f32 v86, v77, v68 :: v_dual_mul_f32 v151, 0xbf4c4adb, v46
	v_mul_f32_e32 v144, 0xbf4c4adb, v91
	v_dual_fmac_f32 v66, v22, v93 :: v_dual_add_f32 v87, v77, v68
	v_dual_sub_f32 v26, v56, v51 :: v_dual_add_f32 v41, v58, v52
	v_dual_sub_f32 v22, v62, v57 :: v_dual_add_f32 v43, v56, v51
	v_dual_add_f32 v76, v74, v70 :: v_dual_sub_f32 v89, v80, v63
	v_mul_f32_e32 v143, 0x3f763a35, v90
	v_mul_f32_e32 v13, 0xbf4c4adb, v86
	v_fma_f32 v161, 0xbf1a4643, v45, -v144
	v_dual_sub_f32 v88, v78, v65 :: v_dual_add_f32 v27, v67, v66
	v_dual_sub_f32 v82, v72, v71 :: v_dual_mul_f32 v7, 0xbf2c7751, v22
	s_delay_alu instid0(VALU_DEP_3)
	v_dual_mul_f32 v152, 0x3f763a35, v26 :: v_dual_add_f32 v161, v0, v161
	v_mul_f32_e32 v128, 0x3f763a35, v89
	v_dual_mul_f32 v139, 0xbf1a4643, v76 :: v_dual_fmamk_f32 v160, v94, 0xbf1a4643, v151
	v_fma_f32 v163, 0xbe8c1d8e, v43, -v143
	v_fma_f32 v151, 0xbf1a4643, v94, -v151
	v_mul_f32_e32 v14, 0xbeb8f4ab, v89
	v_dual_add_f32 v18, v80, v63 :: v_dual_add_f32 v31, v59, v53
	v_dual_mul_f32 v6, 0xbf06c442, v88 :: v_dual_mul_f32 v149, 0xbf06c442, v89
	v_dual_mul_f32 v10, 0x3f65296c, v82 :: v_dual_add_f32 v161, v163, v161
	v_dual_mul_f32 v156, 0xbe3c28d5, v46 :: v_dual_mul_f32 v155, 0xbe3c28d5, v91
	v_add_f32_e32 v151, v1, v151
	v_fma_f32 v181, 0x3f6eb680, v41, -v14
	v_dual_sub_f32 v20, v67, v66 :: v_dual_add_f32 v29, v62, v57
	v_dual_mul_f32 v157, 0x3eb8f4ab, v26 :: v_dual_add_f32 v160, v1, v160
	v_dual_mul_f32 v158, 0xbf06c442, v25 :: v_dual_mul_f32 v107, 0xbf06c442, v91
	s_delay_alu instid0(VALU_DEP_4) | instskip(SKIP_4) | instid1(VALU_DEP_4)
	v_dual_mul_f32 v112, 0xbeb8f4ab, v83 :: v_dual_add_f32 v161, v181, v161
	v_dual_mul_f32 v113, 0xbf7ba420, v19 :: v_dual_fmamk_f32 v164, v94, 0xbf7ba420, v156
	v_fma_f32 v191, 0xbf59a7d5, v31, -v6
	v_dual_mul_f32 v8, 0x3f65296c, v20 :: v_dual_mul_f32 v103, 0x3f65296c, v90
	v_dual_mul_f32 v154, 0x3eb8f4ab, v90 :: v_dual_mul_f32 v129, 0x3eb8f4ab, v88
	v_dual_mul_f32 v11, 0xbf763a35, v83 :: v_dual_add_f32 v164, v1, v164
	v_dual_mul_f32 v99, 0x3f4c4adb, v88 :: v_dual_mul_f32 v140, 0x3f4c4adb, v83
	v_dual_mul_f32 v118, 0x3f6eb680, v76 :: v_dual_fmamk_f32 v165, v19, 0x3f6eb680, v157
	v_fma_f32 v166, 0xbf7ba420, v45, -v155
	v_dual_fmamk_f32 v170, v45, 0xbf59a7d5, v107 :: v_dual_add_f32 v161, v191, v161
	v_fmac_f32_e32 v155, 0xbf7ba420, v45
	v_fmac_f32_e32 v144, 0xbf1a4643, v45
	v_dual_mul_f32 v93, 0xbf763a35, v82 :: v_dual_add_f32 v164, v165, v164
	v_dual_mul_f32 v122, 0xbe8c1d8e, v18 :: v_dual_fmac_f32 v143, 0xbe8c1d8e, v43
	v_fma_f32 v167, 0x3f6eb680, v43, -v154
	v_fmac_f32_e32 v154, 0x3f6eb680, v43
	v_fmamk_f32 v165, v31, 0xbf1a4643, v99
	v_dual_fmamk_f32 v177, v26, 0x3e3c28d5, v113 :: v_dual_add_f32 v144, v0, v144
	v_mul_f32_e32 v104, 0xbf7ee86f, v89
	v_add_f32_e32 v170, v0, v170
	v_dual_mul_f32 v150, 0xbeb8f4ab, v25 :: v_dual_add_f32 v155, v0, v155
	v_fmamk_f32 v171, v43, 0x3ee437d1, v103
	v_dual_sub_f32 v24, v59, v53 :: v_dual_add_f32 v73, v72, v71
	v_dual_add_f32 v30, v60, v54 :: v_dual_sub_f32 v85, v75, v69
	v_dual_mul_f32 v17, 0x3f2c7751, v88 :: v_dual_mul_f32 v138, 0x3f2c7751, v82
	v_mul_f32_e32 v126, 0xbf59a7d5, v19
	v_mul_f32_e32 v119, 0x3f06c442, v90
	;; [unrolled: 1-line block ×3, first 2 shown]
	v_dual_mul_f32 v135, 0x3dbcf732, v81 :: v_dual_mul_f32 v114, 0x3dbcf732, v94
	v_fma_f32 v183, 0xbf59a7d5, v41, -v149
	v_dual_fmac_f32 v149, 0xbf59a7d5, v41 :: v_dual_add_f32 v170, v171, v170
	v_dual_fmamk_f32 v171, v31, 0x3f6eb680, v129 :: v_dual_add_f32 v154, v154, v155
	v_dual_mul_f32 v136, 0xbf7ee86f, v91 :: v_dual_add_f32 v143, v143, v144
	v_fmamk_f32 v185, v41, 0x3dbcf732, v104
	v_dual_mul_f32 v92, 0xbe8c1d8e, v73 :: v_dual_mul_f32 v131, 0xbe8c1d8e, v94
	v_dual_mul_f32 v121, 0xbf65296c, v88 :: v_dual_mul_f32 v130, 0xbf65296c, v86
	v_dual_mul_f32 v111, 0x3f7ee86f, v85 :: v_dual_fmamk_f32 v176, v46, 0x3f7ee86f, v114
	v_fmamk_f32 v175, v43, 0xbf59a7d5, v119
	v_fmamk_f32 v168, v46, 0x3f06c442, v108
	v_mul_f32_e32 v127, 0xbe3c28d5, v90
	v_fma_f32 v193, 0x3f3d2fb0, v31, -v17
	v_dual_fmac_f32 v17, 0x3f3d2fb0, v31 :: v_dual_add_f32 v176, v1, v176
	v_add_f32_e32 v149, v149, v154
	v_dual_mul_f32 v105, 0x3dbcf732, v18 :: v_dual_fmamk_f32 v178, v45, 0x3dbcf732, v136
	v_fmamk_f32 v172, v46, 0x3f763a35, v131
	v_add_f32_e32 v168, v1, v168
	s_delay_alu instid0(VALU_DEP_4)
	v_add_f32_e32 v17, v17, v149
	v_fmamk_f32 v179, v43, 0xbf7ba420, v127
	v_dual_fmamk_f32 v155, v31, 0x3ee437d1, v121 :: v_dual_add_f32 v178, v0, v178
	v_fma_f32 v156, 0xbf7ba420, v94, -v156
	v_mul_f32_e32 v125, 0xbf763a35, v91
	v_fmamk_f32 v189, v41, 0xbe8c1d8e, v128
	v_add_f32_e32 v172, v1, v172
	v_dual_add_f32 v178, v179, v178 :: v_dual_fmamk_f32 v181, v73, 0x3ee437d1, v8
	v_dual_mul_f32 v100, 0x3f3d2fb0, v76 :: v_dual_mul_f32 v137, 0x3f3d2fb0, v73
	v_add_f32_e32 v156, v1, v156
	s_delay_alu instid0(VALU_DEP_3) | instskip(SKIP_3) | instid1(VALU_DEP_4)
	v_add_f32_e32 v178, v189, v178
	v_fmamk_f32 v174, v45, 0xbe8c1d8e, v125
	v_dual_mul_f32 v159, 0x3f2c7751, v24 :: v_dual_mul_f32 v120, 0x3f2c7751, v89
	v_dual_mul_f32 v5, 0xbe3c28d5, v21 :: v_dual_mul_f32 v2, 0xbe3c28d5, v83
	v_add_f32_e32 v171, v171, v178
	s_delay_alu instid0(VALU_DEP_4)
	v_add_f32_e32 v174, v0, v174
	v_dual_mul_f32 v96, 0x3ee437d1, v19 :: v_dual_mul_f32 v133, 0x3ee437d1, v16
	v_dual_mul_f32 v95, 0x3f2c7751, v83 :: v_dual_add_f32 v166, v0, v166
	v_dual_mul_f32 v132, 0x3f3d2fb0, v18 :: v_dual_fmamk_f32 v187, v41, 0x3f3d2fb0, v120
	v_fma_f32 v157, 0x3f6eb680, v19, -v157
	v_dual_add_f32 v174, v175, v174 :: v_dual_fmamk_f32 v175, v76, 0xbf7ba420, v5
	v_dual_add_f32 v28, v64, v61 :: v_dual_mul_f32 v145, 0xbf06c442, v24
	v_dual_mul_f32 v15, 0x3f7ee86f, v23 :: v_dual_mul_f32 v4, 0x3f7ee86f, v86
	v_dual_mul_f32 v153, 0xbf4c4adb, v23 :: v_dual_mul_f32 v110, 0xbf4c4adb, v82
	v_dual_mul_f32 v115, 0xbe3c28d5, v86 :: v_dual_add_f32 v156, v157, v156
	v_dual_mul_f32 v117, 0xbf06c442, v85 :: v_dual_add_f32 v166, v167, v166
	v_dual_mul_f32 v142, 0xbf65296c, v91 :: v_dual_fmamk_f32 v169, v26, 0xbf65296c, v96
	v_fmamk_f32 v162, v19, 0xbe8c1d8e, v152
	v_dual_fmamk_f32 v173, v26, 0xbf06c442, v126 :: v_dual_add_f32 v174, v187, v174
	v_fmamk_f32 v182, v18, 0xbf59a7d5, v158
	v_fma_f32 v158, 0xbf59a7d5, v18, -v158
	v_fma_f32 v152, 0xbe8c1d8e, v19, -v152
	v_dual_add_f32 v168, v169, v168 :: v_dual_fmamk_f32 v163, v87, 0x3dbcf732, v15
	v_dual_add_f32 v172, v173, v172 :: v_dual_fmamk_f32 v173, v87, 0xbf1a4643, v153
	v_add_f32_e32 v176, v177, v176
	v_fma_f32 v177, 0xbf1a4643, v30, -v13
	v_add_f32_e32 v166, v183, v166
	v_fma_f32 v187, 0xbe8c1d8e, v28, -v11
	v_fmac_f32_e32 v11, 0xbe8c1d8e, v28
	v_dual_mul_f32 v97, 0xbe3c28d5, v85 :: v_dual_add_f32 v160, v162, v160
	v_fmac_f32_e32 v13, 0xbf1a4643, v30
	v_fmamk_f32 v192, v16, 0x3f3d2fb0, v159
	v_fma_f32 v159, 0x3f3d2fb0, v16, -v159
	s_delay_alu instid0(VALU_DEP_4)
	v_dual_add_f32 v156, v158, v156 :: v_dual_fmamk_f32 v191, v29, 0xbf7ba420, v97
	v_dual_mul_f32 v12, 0x3f65296c, v85 :: v_dual_add_f32 v151, v152, v151
	v_fma_f32 v153, 0xbf1a4643, v87, -v153
	v_dual_add_f32 v170, v185, v170 :: v_dual_fmamk_f32 v185, v30, 0x3ee437d1, v130
	v_dual_add_f32 v166, v193, v166 :: v_dual_fmamk_f32 v193, v28, 0x3f3d2fb0, v95
	v_add_f32_e32 v156, v159, v156
	v_fmamk_f32 v190, v16, 0xbf59a7d5, v145
	v_fma_f32 v145, 0xbf59a7d5, v16, -v145
	v_fmamk_f32 v180, v18, 0x3f6eb680, v150
	v_fma_f32 v150, 0x3f6eb680, v18, -v150
	v_fma_f32 v15, 0x3dbcf732, v87, -v15
	v_fmamk_f32 v149, v29, 0x3dbcf732, v111
	v_dual_mul_f32 v3, 0xbf2c7751, v85 :: v_dual_fmamk_f32 v186, v25, 0xbf2c7751, v132
	s_delay_alu instid0(VALU_DEP_4) | instskip(SKIP_2) | instid1(VALU_DEP_3)
	v_dual_add_f32 v150, v150, v151 :: v_dual_mul_f32 v147, 0xbf763a35, v21
	v_fmamk_f32 v188, v25, 0xbf763a35, v122
	v_dual_mul_f32 v102, 0x3f6eb680, v87 :: v_dual_mul_f32 v123, 0x3f6eb680, v16
	v_add_f32_e32 v145, v145, v150
	v_fma_f32 v167, 0x3dbcf732, v30, -v4
	v_fmamk_f32 v152, v81, 0x3f3d2fb0, v7
	v_fma_f32 v7, 0x3f3d2fb0, v81, -v7
	v_dual_mul_f32 v98, 0xbeb8f4ab, v86 :: v_dual_fmamk_f32 v169, v24, 0xbeb8f4ab, v123
	v_dual_add_f32 v15, v15, v145 :: v_dual_fmamk_f32 v184, v25, 0x3f7ee86f, v105
	v_add_f32_e32 v161, v167, v161
	v_fma_f32 v144, 0x3f3d2fb0, v29, -v3
	s_delay_alu instid0(VALU_DEP_3) | instskip(SKIP_2) | instid1(VALU_DEP_3)
	v_dual_add_f32 v176, v188, v176 :: v_dual_add_f32 v7, v7, v15
	v_fmac_f32_e32 v14, 0x3f6eb680, v41
	v_add_f32_e32 v160, v180, v160
	v_dual_add_f32 v144, v144, v161 :: v_dual_add_f32 v169, v169, v176
	v_dual_fmamk_f32 v176, v27, 0xbf1a4643, v110 :: v_dual_mul_f32 v161, 0xbf1a4643, v19
	s_delay_alu instid0(VALU_DEP_4) | instskip(SKIP_4) | instid1(VALU_DEP_3)
	v_add_f32_e32 v14, v14, v143
	v_fma_f32 v143, 0x3ee437d1, v29, -v12
	v_add_f32_e32 v166, v177, v166
	v_dual_fmamk_f32 v154, v30, 0xbf7ba420, v115 :: v_dual_add_f32 v153, v153, v156
	v_dual_mul_f32 v106, 0xbf1a4643, v16 :: v_dual_mul_f32 v109, 0xbf1a4643, v73
	v_dual_add_f32 v143, v143, v166 :: v_dual_add_f32 v160, v190, v160
	v_dual_mul_f32 v124, 0x3ee437d1, v87 :: v_dual_mul_f32 v141, 0x3ee437d1, v94
	v_dual_mul_f32 v146, 0x3f65296c, v22 :: v_dual_fmamk_f32 v157, v24, 0x3f65296c, v133
	s_delay_alu instid0(VALU_DEP_3) | instskip(NEXT) | instid1(VALU_DEP_4)
	v_add_f32_e32 v143, v187, v143
	v_add_f32_e32 v160, v163, v160
	v_dual_fmamk_f32 v162, v24, 0xbf4c4adb, v106 :: v_dual_fmamk_f32 v163, v21, 0xbf4c4adb, v139
	v_dual_add_f32 v168, v184, v168 :: v_dual_fmac_f32 v3, 0x3f3d2fb0, v29
	v_dual_fmamk_f32 v184, v23, 0x3f65296c, v124 :: v_dual_fmamk_f32 v177, v46, 0x3f65296c, v141
	v_fmamk_f32 v159, v22, 0xbf7ee86f, v135
	v_dual_add_f32 v155, v155, v174 :: v_dual_add_f32 v164, v182, v164
	v_fmamk_f32 v151, v81, 0x3ee437d1, v146
	v_dual_add_f32 v13, v13, v17 :: v_dual_add_f32 v152, v152, v160
	v_fmac_f32_e32 v12, 0x3ee437d1, v29
	v_dual_mul_f32 v101, 0xbf7ba420, v81 :: v_dual_mul_f32 v134, 0xbf7ba420, v87
	v_dual_fmamk_f32 v180, v23, 0x3eb8f4ab, v102 :: v_dual_add_f32 v145, v184, v169
	v_dual_add_f32 v172, v186, v172 :: v_dual_fmamk_f32 v167, v28, 0xbf1a4643, v140
	v_add_f32_e32 v164, v192, v164
	v_fma_f32 v5, 0xbf7ba420, v76, -v5
	v_add_f32_e32 v162, v162, v168
	v_dual_fmac_f32 v6, 0xbf59a7d5, v31 :: v_dual_add_f32 v15, v175, v152
	v_add_f32_e32 v12, v12, v13
	v_dual_mul_f32 v148, 0x3f7ee86f, v20 :: v_dual_mul_f32 v9, 0x3f7ee86f, v82
	v_fmac_f32_e32 v4, 0x3dbcf732, v30
	s_delay_alu instid0(VALU_DEP_3)
	v_dual_fmamk_f32 v190, v22, 0x3e3c28d5, v101 :: v_dual_add_f32 v11, v11, v12
	v_fma_f32 v194, 0x3ee437d1, v73, -v8
	v_fmamk_f32 v174, v20, 0x3f4c4adb, v109
	v_add_f32_e32 v8, v157, v172
	v_fmamk_f32 v157, v21, 0x3eb8f4ab, v118
	v_dual_add_f32 v164, v173, v164 :: v_dual_fmamk_f32 v173, v20, 0xbf2c7751, v137
	v_dual_add_f32 v17, v180, v162 :: v_dual_fmamk_f32 v158, v23, 0x3e3c28d5, v134
	v_add_f32_e32 v6, v6, v14
	v_fma_f32 v189, 0x3dbcf732, v27, -v9
	v_fmac_f32_e32 v9, 0x3dbcf732, v27
	s_delay_alu instid0(VALU_DEP_4)
	v_add_f32_e32 v13, v190, v17
	v_dual_mul_f32 v116, 0xbf59a7d5, v81 :: v_dual_add_f32 v165, v165, v170
	v_add_f32_e32 v4, v4, v6
	v_add_f32_e32 v6, v158, v8
	v_fmamk_f32 v188, v73, 0x3dbcf732, v148
	v_add_f32_e32 v8, v154, v155
	v_fma_f32 v179, 0xbf7ba420, v28, -v2
	v_add_f32_e32 v3, v3, v4
	v_add_f32_e32 v4, v159, v6
	v_dual_fmamk_f32 v182, v30, 0x3f6eb680, v98 :: v_dual_add_f32 v151, v151, v164
	v_fma_f32 v146, 0x3ee437d1, v81, -v146
	v_fmamk_f32 v168, v22, 0x3f06c442, v116
	v_add_f32_e32 v6, v149, v8
	v_add_f32_e32 v149, v157, v4
	;; [unrolled: 1-line block ×3, first 2 shown]
	v_fmamk_f32 v143, v45, 0x3ee437d1, v142
	v_fma_f32 v183, 0x3ee437d1, v27, -v10
	v_fmac_f32_e32 v2, 0xbf7ba420, v28
	v_add_f32_e32 v156, v182, v165
	v_add_f32_e32 v146, v146, v153
	;; [unrolled: 1-line block ×3, first 2 shown]
	v_dual_add_f32 v144, v179, v144 :: v_dual_add_f32 v143, v0, v143
	s_delay_alu instid0(VALU_DEP_4) | instskip(SKIP_3) | instid1(VALU_DEP_3)
	v_dual_fmamk_f32 v186, v76, 0xbe8c1d8e, v147 :: v_dual_add_f32 v17, v191, v156
	v_fma_f32 v147, 0xbe8c1d8e, v76, -v147
	v_fmamk_f32 v192, v21, 0xbf2c7751, v100
	v_dual_add_f32 v152, v163, v8 :: v_dual_mul_f32 v163, 0x3f3d2fb0, v94
	v_dual_add_f32 v145, v186, v151 :: v_dual_add_f32 v146, v147, v146
	v_dual_add_f32 v147, v2, v3 :: v_dual_add_f32 v2, v183, v144
	v_mul_f32_e32 v157, 0xbf59a7d5, v73
	v_dual_add_f32 v144, v1, v177 :: v_dual_mul_f32 v165, 0xbf2c7751, v91
	v_fma_f32 v148, 0x3dbcf732, v73, -v148
	v_dual_fmamk_f32 v170, v20, 0x3f763a35, v92 :: v_dual_add_f32 v3, v181, v15
	v_add_f32_e32 v12, v192, v13
	v_add_f32_e32 v13, v193, v17
	;; [unrolled: 1-line block ×4, first 2 shown]
	v_dual_add_f32 v15, v173, v152 :: v_dual_mul_f32 v156, 0xbf4c4adb, v90
	v_fmamk_f32 v145, v26, 0x3f4c4adb, v161
	v_fmamk_f32 v172, v28, 0x3f6eb680, v112
	v_dual_mul_f32 v152, 0x3f3d2fb0, v87 :: v_dual_fmamk_f32 v159, v45, 0x3f3d2fb0, v165
	v_dual_fmamk_f32 v14, v29, 0xbf59a7d5, v117 :: v_dual_add_f32 v7, v148, v146
	v_fmac_f32_e32 v10, 0x3ee437d1, v27
	s_delay_alu instid0(VALU_DEP_3)
	v_dual_mul_f32 v158, 0xbf7ba420, v18 :: v_dual_add_f32 v159, v0, v159
	v_fmamk_f32 v146, v43, 0xbf1a4643, v156
	v_dual_mul_f32 v148, 0x3e3c28d5, v89 :: v_dual_add_f32 v145, v145, v144
	v_dual_fmamk_f32 v150, v27, 0xbe8c1d8e, v93 :: v_dual_add_f32 v151, v172, v6
	v_dual_add_f32 v6, v9, v11 :: v_dual_add_f32 v9, v170, v12
	v_dual_add_f32 v10, v10, v147 :: v_dual_fmamk_f32 v147, v25, 0xbe3c28d5, v158
	s_delay_alu instid0(VALU_DEP_3)
	v_dual_add_f32 v12, v176, v151 :: v_dual_mul_f32 v151, 0xbe8c1d8e, v16
	v_dual_add_f32 v143, v146, v143 :: v_dual_fmamk_f32 v146, v41, 0xbf7ba420, v148
	v_mul_f32_e32 v144, 0x3f763a35, v88
	v_add_f32_e32 v154, v185, v171
	v_add_f32_e32 v8, v150, v13
	;; [unrolled: 1-line block ×4, first 2 shown]
	v_fmamk_f32 v149, v24, 0xbf763a35, v151
	v_dual_add_f32 v143, v146, v143 :: v_dual_fmamk_f32 v146, v31, 0xbe8c1d8e, v144
	v_mul_f32_e32 v145, 0x3f2c7751, v86
	v_mul_f32_e32 v177, 0x3ee437d1, v76
	s_delay_alu instid0(VALU_DEP_4)
	v_dual_add_f32 v147, v149, v147 :: v_dual_fmamk_f32 v150, v23, 0xbf2c7751, v152
	v_mul_f32_e32 v149, 0x3f6eb680, v81
	v_add_f32_e32 v143, v146, v143
	v_fmamk_f32 v153, v30, 0x3f3d2fb0, v145
	v_dual_add_f32 v14, v14, v154 :: v_dual_fmamk_f32 v169, v21, 0xbf65296c, v177
	v_mul_f32_e32 v146, 0xbeb8f4ab, v85
	v_add_f32_e32 v11, v194, v17
	v_fmamk_f32 v17, v27, 0x3f3d2fb0, v138
	v_add_f32_e32 v147, v150, v147
	v_fmamk_f32 v154, v22, 0x3eb8f4ab, v149
	v_dual_mul_f32 v150, 0x3dbcf732, v76 :: v_dual_add_f32 v153, v153, v143
	v_fmamk_f32 v155, v29, 0x3f6eb680, v146
	v_dual_mul_f32 v143, 0xbf7ee86f, v83 :: v_dual_add_f32 v14, v167, v14
	v_mul_f32_e32 v168, 0x3dbcf732, v19
	s_delay_alu instid0(VALU_DEP_3) | instskip(NEXT) | instid1(VALU_DEP_3)
	v_dual_mul_f32 v172, 0xbf1a4643, v18 :: v_dual_add_f32 v153, v155, v153
	v_dual_fmamk_f32 v155, v28, 0x3dbcf732, v143 :: v_dual_add_f32 v14, v17, v14
	v_dual_add_f32 v17, v154, v147 :: v_dual_fmamk_f32 v154, v21, 0x3f7ee86f, v150
	v_dual_add_f32 v84, v1, v84 :: v_dual_mul_f32 v91, 0xbeb8f4ab, v91
	s_delay_alu instid0(VALU_DEP_3) | instskip(SKIP_1) | instid1(VALU_DEP_4)
	v_add_f32_e32 v171, v155, v153
	v_add_f32_e32 v55, v0, v55
	;; [unrolled: 1-line block ×3, first 2 shown]
	v_fmamk_f32 v154, v46, 0x3f2c7751, v163
	v_dual_mul_f32 v174, 0xbf7ba420, v16 :: v_dual_add_f32 v79, v84, v79
	s_delay_alu instid0(VALU_DEP_4) | instskip(NEXT) | instid1(VALU_DEP_3)
	v_dual_mul_f32 v170, 0xbf4c4adb, v89 :: v_dual_add_f32 v55, v55, v56
	v_dual_add_f32 v153, v1, v154 :: v_dual_fmamk_f32 v154, v26, 0x3f7ee86f, v168
	v_fmamk_f32 v84, v45, 0x3f6eb680, v91
	s_delay_alu instid0(VALU_DEP_4)
	v_fmamk_f32 v162, v24, 0x3e3c28d5, v174
	v_add_f32_e32 v56, v79, v80
	v_add_f32_e32 v55, v55, v58
	v_dual_add_f32 v153, v154, v153 :: v_dual_fmamk_f32 v154, v25, 0x3f4c4adb, v172
	v_mul_f32_e32 v167, 0xbf7ee86f, v90
	v_add_f32_e32 v79, v0, v84
	s_delay_alu instid0(VALU_DEP_4) | instskip(NEXT) | instid1(VALU_DEP_4)
	v_add_f32_e32 v55, v55, v59
	v_dual_fmac_f32 v131, 0xbf763a35, v46 :: v_dual_add_f32 v154, v154, v153
	s_delay_alu instid0(VALU_DEP_4) | instskip(SKIP_1) | instid1(VALU_DEP_4)
	v_fmamk_f32 v160, v43, 0x3dbcf732, v167
	v_mul_f32_e32 v175, 0xbf59a7d5, v87
	v_dual_add_f32 v55, v55, v60 :: v_dual_mul_f32 v84, 0xbf65296c, v89
	s_delay_alu instid0(VALU_DEP_3) | instskip(SKIP_2) | instid1(VALU_DEP_4)
	v_dual_add_f32 v162, v162, v154 :: v_dual_add_f32 v159, v160, v159
	v_fmamk_f32 v160, v41, 0xbf1a4643, v170
	v_mul_f32_e32 v154, 0x3f06c442, v86
	v_add_f32_e32 v55, v55, v62
	v_mul_f32_e32 v90, 0xbf2c7751, v90
	v_add_f32_e32 v56, v56, v78
	v_fmac_f32_e32 v126, 0x3f06c442, v26
	s_delay_alu instid0(VALU_DEP_4) | instskip(NEXT) | instid1(VALU_DEP_4)
	v_dual_mul_f32 v60, 0xbf763a35, v86 :: v_dual_add_f32 v55, v55, v64
	v_fmamk_f32 v80, v43, 0x3f3d2fb0, v90
	v_fmamk_f32 v78, v41, 0x3ee437d1, v84
	v_fmac_f32_e32 v92, 0xbf763a35, v20
	s_delay_alu instid0(VALU_DEP_4) | instskip(NEXT) | instid1(VALU_DEP_4)
	v_dual_mul_f32 v62, 0xbf4c4adb, v85 :: v_dual_add_f32 v55, v55, v67
	v_dual_add_f32 v58, v80, v79 :: v_dual_mul_f32 v79, 0xbf7ee86f, v88
	v_add_f32_e32 v56, v56, v77
	v_dual_fmamk_f32 v164, v23, 0xbf06c442, v175 :: v_dual_mul_f32 v67, 0xbf06c442, v83
	v_dual_mul_f32 v176, 0xbe8c1d8e, v81 :: v_dual_mul_f32 v87, 0xbe8c1d8e, v87
	s_delay_alu instid0(VALU_DEP_4) | instskip(SKIP_3) | instid1(VALU_DEP_4)
	v_dual_fmamk_f32 v59, v31, 0x3dbcf732, v79 :: v_dual_add_f32 v58, v78, v58
	v_fmac_f32_e32 v174, 0xbe3c28d5, v24
	v_fmac_f32_e32 v132, 0x3f2c7751, v25
	v_dual_mul_f32 v153, 0xbe3c28d5, v88 :: v_dual_add_f32 v162, v164, v162
	v_dual_add_f32 v58, v59, v58 :: v_dual_fmamk_f32 v59, v30, 0xbe8c1d8e, v60
	v_dual_fmamk_f32 v164, v22, 0xbf763a35, v176 :: v_dual_add_f32 v55, v55, v66
	v_fmac_f32_e32 v133, 0xbf65296c, v24
	v_mul_f32_e32 v64, 0xbf59a7d5, v76
	s_delay_alu instid0(VALU_DEP_4) | instskip(SKIP_3) | instid1(VALU_DEP_4)
	v_dual_add_f32 v58, v59, v58 :: v_dual_fmamk_f32 v59, v29, 0xbf1a4643, v62
	v_add_f32_e32 v56, v56, v75
	v_fmac_f32_e32 v118, 0xbeb8f4ab, v21
	v_fmamk_f32 v66, v28, 0xbf59a7d5, v67
	v_dual_fmac_f32 v105, 0xbf7ee86f, v25 :: v_dual_add_f32 v58, v59, v58
	v_fmamk_f32 v59, v21, 0x3f06c442, v64
	v_fmac_f32_e32 v134, 0xbe3c28d5, v23
	v_fmamk_f32 v155, v20, 0x3f06c442, v157
	v_fmac_f32_e32 v135, 0x3f7ee86f, v22
	v_add_f32_e32 v58, v66, v58
	v_mul_f32_e32 v66, 0xbe3c28d5, v82
	v_add_f32_e32 v56, v56, v74
	v_fmac_f32_e32 v161, 0xbf4c4adb, v26
	v_add_f32_e32 v159, v160, v159
	v_add_f32_e32 v17, v155, v17
	v_dual_mul_f32 v155, 0x3f763a35, v85 :: v_dual_add_f32 v166, v164, v162
	v_add_f32_e32 v56, v56, v72
	v_dual_mul_f32 v164, 0x3f3d2fb0, v19 :: v_dual_add_f32 v55, v55, v61
	v_mul_f32_e32 v162, 0x3f6eb680, v94
	s_delay_alu instid0(VALU_DEP_3) | instskip(SKIP_1) | instid1(VALU_DEP_4)
	v_dual_add_f32 v179, v169, v166 :: v_dual_add_f32 v56, v56, v71
	v_mul_f32_e32 v147, 0xbf06c442, v82
	v_add_f32_e32 v57, v55, v57
	v_fmac_f32_e32 v141, 0xbf65296c, v46
	v_fmac_f32_e32 v108, 0xbf06c442, v46
	v_add_f32_e32 v56, v56, v70
	s_delay_alu instid0(VALU_DEP_4) | instskip(SKIP_3) | instid1(VALU_DEP_4)
	v_dual_mul_f32 v70, 0xbf7ba420, v73 :: v_dual_add_f32 v57, v57, v54
	v_fmamk_f32 v173, v27, 0xbf59a7d5, v147
	v_mul_f32_e32 v77, 0xbf1a4643, v81
	v_fmac_f32_e32 v101, 0xbe3c28d5, v22
	v_fmamk_f32 v61, v20, 0x3e3c28d5, v70
	v_dual_fmamk_f32 v160, v31, 0xbf7ba420, v153 :: v_dual_add_f32 v53, v57, v53
	v_fma_f32 v57, 0xbf59a7d5, v45, -v107
	v_mul_f32_e32 v166, 0x3ee437d1, v18
	v_fmamk_f32 v75, v22, 0x3f4c4adb, v77
	s_delay_alu instid0(VALU_DEP_4) | instskip(NEXT) | instid1(VALU_DEP_4)
	v_dual_add_f32 v159, v160, v159 :: v_dual_fmamk_f32 v160, v30, 0xbf59a7d5, v154
	v_dual_add_f32 v52, v53, v52 :: v_dual_add_f32 v53, v0, v57
	v_dual_add_f32 v56, v56, v69 :: v_dual_fmac_f32 v113, 0xbe3c28d5, v26
	s_delay_alu instid0(VALU_DEP_3)
	v_add_f32_e32 v94, v160, v159
	v_fmamk_f32 v160, v29, 0xbe8c1d8e, v155
	v_mul_f32_e32 v159, 0x3f65296c, v83
	v_fmac_f32_e32 v109, 0xbf4c4adb, v20
	v_add_f32_e32 v56, v56, v68
	v_fmac_f32_e32 v96, 0x3f65296c, v26
	v_add_f32_e32 v19, v160, v94
	v_dual_mul_f32 v160, 0x3eb8f4ab, v82 :: v_dual_add_f32 v51, v52, v51
	v_fmamk_f32 v94, v28, 0x3ee437d1, v159
	v_dual_add_f32 v56, v56, v65 :: v_dual_fmac_f32 v123, 0x3eb8f4ab, v24
	s_delay_alu instid0(VALU_DEP_3) | instskip(SKIP_1) | instid1(VALU_DEP_4)
	v_fmamk_f32 v181, v27, 0x3f6eb680, v160
	v_fmamk_f32 v178, v46, 0x3eb8f4ab, v162
	v_add_f32_e32 v18, v94, v19
	s_delay_alu instid0(VALU_DEP_4) | instskip(SKIP_1) | instid1(VALU_DEP_4)
	v_dual_add_f32 v56, v56, v63 :: v_dual_fmac_f32 v139, 0x3f4c4adb, v21
	v_fmac_f32_e32 v137, 0x3f2c7751, v20
	v_dual_add_f32 v169, v1, v178 :: v_dual_fmamk_f32 v178, v26, 0x3f2c7751, v164
	s_delay_alu instid0(VALU_DEP_4) | instskip(NEXT) | instid1(VALU_DEP_4)
	v_add_f32_e32 v18, v181, v18
	v_add_f32_e32 v48, v56, v48
	v_fma_f32 v56, 0x3ee437d1, v43, -v103
	s_delay_alu instid0(VALU_DEP_4) | instskip(SKIP_2) | instid1(VALU_DEP_4)
	v_dual_fmac_f32 v106, 0x3f4c4adb, v24 :: v_dual_add_f32 v19, v178, v169
	v_fmamk_f32 v178, v25, 0x3f65296c, v166
	v_dual_mul_f32 v169, 0x3dbcf732, v16 :: v_dual_add_f32 v16, v173, v171
	v_dual_add_f32 v52, v56, v53 :: v_dual_fmac_f32 v163, 0xbf2c7751, v46
	s_delay_alu instid0(VALU_DEP_3) | instskip(NEXT) | instid1(VALU_DEP_3)
	v_add_f32_e32 v171, v178, v19
	v_fmamk_f32 v173, v24, 0x3f7ee86f, v169
	v_fma_f32 v53, 0x3dbcf732, v41, -v104
	v_dual_add_f32 v48, v48, v47 :: v_dual_fmac_f32 v151, 0x3f763a35, v24
	v_dual_fmac_f32 v102, 0xbeb8f4ab, v23 :: v_dual_fmac_f32 v149, 0xbeb8f4ab, v22
	s_delay_alu instid0(VALU_DEP_4) | instskip(SKIP_3) | instid1(VALU_DEP_3)
	v_add_f32_e32 v171, v173, v171
	v_fmamk_f32 v173, v23, 0x3f763a35, v87
	v_dual_add_f32 v47, v51, v50 :: v_dual_add_f32 v50, v53, v52
	v_fma_f32 v51, 0xbf1a4643, v31, -v99
	v_dual_fmac_f32 v100, 0x3f2c7751, v21 :: v_dual_add_f32 v89, v173, v171
	v_fmac_f32_e32 v172, 0xbf4c4adb, v25
	s_delay_alu instid0(VALU_DEP_3) | instskip(SKIP_1) | instid1(VALU_DEP_4)
	v_dual_fmac_f32 v157, 0xbf06c442, v20 :: v_dual_add_f32 v50, v51, v50
	v_fma_f32 v51, 0x3f6eb680, v30, -v98
	v_add_f32_e32 v74, v75, v89
	v_fma_f32 v65, 0x3f6eb680, v29, -v146
	v_fmac_f32_e32 v175, 0x3f06c442, v23
	v_fmac_f32_e32 v176, 0x3f763a35, v22
	v_add_f32_e32 v50, v51, v50
	v_add_f32_e32 v59, v59, v74
	v_fma_f32 v51, 0xbf7ba420, v29, -v97
	v_fmac_f32_e32 v177, 0x3f65296c, v21
	v_fmac_f32_e32 v162, 0xbeb8f4ab, v46
	;; [unrolled: 1-line block ×3, first 2 shown]
	v_add_f32_e32 v55, v61, v59
	v_fmamk_f32 v59, v27, 0xbf7ba420, v66
	v_dual_add_f32 v61, v1, v108 :: v_dual_add_f32 v50, v51, v50
	v_fma_f32 v51, 0x3f3d2fb0, v28, -v95
	v_fma_f32 v63, 0x3f3d2fb0, v27, -v138
	s_delay_alu instid0(VALU_DEP_4) | instskip(NEXT) | instid1(VALU_DEP_4)
	v_add_f32_e32 v54, v59, v58
	v_add_f32_e32 v58, v96, v61
	v_mul_f32_e32 v94, 0x3f6eb680, v73
	v_add_f32_e32 v50, v51, v50
	v_fma_f32 v59, 0xbf7ba420, v43, -v127
	v_fmac_f32_e32 v168, 0xbf7ee86f, v26
	s_delay_alu instid0(VALU_DEP_4) | instskip(SKIP_3) | instid1(VALU_DEP_4)
	v_dual_add_f32 v57, v105, v58 :: v_dual_fmamk_f32 v180, v20, 0xbeb8f4ab, v94
	v_fmac_f32_e32 v94, 0x3eb8f4ab, v20
	v_fma_f32 v58, 0xbe8c1d8e, v27, -v93
	v_fmac_f32_e32 v164, 0xbf2c7751, v26
	v_add_f32_e32 v56, v106, v57
	v_fma_f32 v57, 0xbf59a7d5, v43, -v119
	v_dual_fmac_f32 v114, 0xbf7ee86f, v46 :: v_dual_add_f32 v53, v1, v131
	v_fmac_f32_e32 v166, 0xbf65296c, v25
	s_delay_alu instid0(VALU_DEP_4) | instskip(SKIP_3) | instid1(VALU_DEP_4)
	v_add_f32_e32 v52, v102, v56
	v_fma_f32 v56, 0xbe8c1d8e, v45, -v125
	v_fmac_f32_e32 v122, 0x3f763a35, v25
	v_fmac_f32_e32 v169, 0xbf7ee86f, v24
	v_dual_fmac_f32 v87, 0xbf763a35, v23 :: v_dual_add_f32 v52, v101, v52
	s_delay_alu instid0(VALU_DEP_4)
	v_add_f32_e32 v56, v0, v56
	v_fmac_f32_e32 v116, 0xbf06c442, v22
	v_fmac_f32_e32 v158, 0x3e3c28d5, v25
	v_fma_f32 v61, 0x3ee437d1, v45, -v142
	v_add_f32_e32 v52, v100, v52
	v_add_f32_e32 v56, v57, v56
	v_fma_f32 v57, 0x3f3d2fb0, v41, -v120
	v_fmac_f32_e32 v152, 0x3f2c7751, v23
	s_delay_alu instid0(VALU_DEP_4) | instskip(SKIP_1) | instid1(VALU_DEP_4)
	v_dual_fmac_f32 v150, 0xbf7ee86f, v21 :: v_dual_add_f32 v51, v92, v52
	v_fma_f32 v68, 0x3dbcf732, v43, -v167
	v_add_f32_e32 v52, v57, v56
	v_fma_f32 v56, 0x3ee437d1, v31, -v121
	v_fma_f32 v57, 0x3dbcf732, v45, -v136
	;; [unrolled: 1-line block ×5, first 2 shown]
	v_add_f32_e32 v52, v56, v52
	v_fma_f32 v56, 0xbf7ba420, v30, -v115
	v_add_f32_e32 v57, v0, v57
	v_fma_f32 v24, 0x3dbcf732, v31, -v79
	v_fma_f32 v22, 0xbf1a4643, v29, -v62
	v_add_f32_e32 v19, v180, v179
	v_add_f32_e32 v52, v56, v52
	v_fma_f32 v56, 0x3dbcf732, v29, -v111
	v_add_f32_e32 v57, v59, v57
	v_fma_f32 v59, 0xbe8c1d8e, v41, -v128
	s_delay_alu instid0(VALU_DEP_3) | instskip(SKIP_1) | instid1(VALU_DEP_1)
	v_add_f32_e32 v52, v56, v52
	v_fma_f32 v56, 0x3f6eb680, v28, -v112
	v_add_f32_e32 v52, v56, v52
	s_delay_alu instid0(VALU_DEP_4) | instskip(SKIP_2) | instid1(VALU_DEP_2)
	v_add_f32_e32 v56, v59, v57
	v_fma_f32 v57, 0x3f6eb680, v31, -v129
	v_fma_f32 v59, 0xbf1a4643, v27, -v110
	v_add_f32_e32 v56, v57, v56
	v_fma_f32 v57, 0x3ee437d1, v30, -v130
	s_delay_alu instid0(VALU_DEP_3) | instskip(NEXT) | instid1(VALU_DEP_2)
	v_dual_add_f32 v52, v59, v52 :: v_dual_add_f32 v59, v1, v141
	v_add_f32_e32 v56, v57, v56
	v_fma_f32 v57, 0xbf59a7d5, v29, -v117
	s_delay_alu instid0(VALU_DEP_1) | instskip(SKIP_2) | instid1(VALU_DEP_2)
	v_add_f32_e32 v56, v57, v56
	v_fma_f32 v57, 0xbf1a4643, v28, -v140
	v_dual_add_f32 v59, v161, v59 :: v_dual_fmac_f32 v70, 0xbe3c28d5, v20
	v_add_f32_e32 v56, v57, v56
	s_delay_alu instid0(VALU_DEP_1) | instskip(NEXT) | instid1(VALU_DEP_1)
	v_dual_add_f32 v56, v63, v56 :: v_dual_add_f32 v63, v1, v163
	v_add_f32_e32 v63, v168, v63
	v_add_f32_e32 v53, v126, v53
	s_delay_alu instid0(VALU_DEP_2) | instskip(NEXT) | instid1(VALU_DEP_1)
	v_add_f32_e32 v63, v172, v63
	v_add_f32_e32 v63, v174, v63
	s_delay_alu instid0(VALU_DEP_3) | instskip(NEXT) | instid1(VALU_DEP_2)
	v_add_f32_e32 v53, v132, v53
	v_add_f32_e32 v63, v175, v63
	s_delay_alu instid0(VALU_DEP_2) | instskip(SKIP_2) | instid1(VALU_DEP_4)
	v_add_f32_e32 v53, v133, v53
	v_fmac_f32_e32 v64, 0xbf06c442, v21
	v_fma_f32 v21, 0xbf59a7d5, v28, -v67
	v_add_f32_e32 v63, v176, v63
	s_delay_alu instid0(VALU_DEP_1) | instskip(SKIP_4) | instid1(VALU_DEP_1)
	v_add_f32_e32 v46, v177, v63
	v_fma_f32 v63, 0xbf7ba420, v31, -v153
	v_add_f32_e32 v50, v58, v50
	v_add_f32_e32 v58, v1, v114
	;; [unrolled: 1-line block ×4, first 2 shown]
	s_delay_alu instid0(VALU_DEP_1) | instskip(NEXT) | instid1(VALU_DEP_1)
	v_dual_add_f32 v1, v166, v1 :: v_dual_add_f32 v58, v113, v58
	v_dual_add_f32 v1, v169, v1 :: v_dual_add_f32 v58, v122, v58
	s_delay_alu instid0(VALU_DEP_1) | instskip(NEXT) | instid1(VALU_DEP_2)
	v_add_f32_e32 v1, v87, v1
	v_add_f32_e32 v58, v123, v58
	v_fmac_f32_e32 v124, 0xbf65296c, v23
	v_fma_f32 v23, 0xbe8c1d8e, v30, -v60
	s_delay_alu instid0(VALU_DEP_2) | instskip(NEXT) | instid1(VALU_DEP_1)
	v_dual_add_f32 v1, v77, v1 :: v_dual_add_f32 v58, v124, v58
	v_add_f32_e32 v58, v116, v58
	s_delay_alu instid0(VALU_DEP_1) | instskip(NEXT) | instid1(VALU_DEP_1)
	v_add_f32_e32 v58, v139, v58
	v_dual_add_f32 v57, v137, v58 :: v_dual_add_f32 v58, v158, v59
	v_add_f32_e32 v59, v0, v61
	v_fma_f32 v61, 0xbf1a4643, v43, -v156
	s_delay_alu instid0(VALU_DEP_1) | instskip(SKIP_2) | instid1(VALU_DEP_2)
	v_dual_add_f32 v58, v151, v58 :: v_dual_add_f32 v59, v61, v59
	v_fma_f32 v61, 0xbf7ba420, v41, -v148
	v_fma_f32 v41, 0xbe8c1d8e, v29, -v155
	v_dual_add_f32 v58, v152, v58 :: v_dual_add_f32 v59, v61, v59
	v_fma_f32 v61, 0xbe8c1d8e, v31, -v144
	s_delay_alu instid0(VALU_DEP_2) | instskip(NEXT) | instid1(VALU_DEP_2)
	v_add_f32_e32 v58, v149, v58
	v_add_f32_e32 v59, v61, v59
	v_fma_f32 v61, 0x3f3d2fb0, v30, -v145
	s_delay_alu instid0(VALU_DEP_1) | instskip(NEXT) | instid1(VALU_DEP_1)
	v_dual_add_f32 v58, v150, v58 :: v_dual_add_f32 v61, v61, v59
	v_add_f32_e32 v59, v157, v58
	v_fma_f32 v58, 0x3f3d2fb0, v45, -v165
	v_fma_f32 v45, 0x3f6eb680, v45, -v91
	s_delay_alu instid0(VALU_DEP_4) | instskip(SKIP_1) | instid1(VALU_DEP_4)
	v_add_f32_e32 v61, v65, v61
	v_fma_f32 v65, 0x3dbcf732, v28, -v143
	v_add_f32_e32 v58, v0, v58
	s_delay_alu instid0(VALU_DEP_4) | instskip(SKIP_1) | instid1(VALU_DEP_4)
	v_add_f32_e32 v0, v0, v45
	v_fma_f32 v45, 0xbf59a7d5, v30, -v154
	v_add_f32_e32 v61, v65, v61
	v_fma_f32 v65, 0xbf59a7d5, v27, -v147
	v_add_f32_e32 v68, v68, v58
	v_add_f32_e32 v0, v26, v0
	;; [unrolled: 1-line block ×3, first 2 shown]
	s_delay_alu instid0(VALU_DEP_4) | instskip(NEXT) | instid1(VALU_DEP_4)
	v_add_f32_e32 v58, v65, v61
	v_add_f32_e32 v61, v69, v68
	s_delay_alu instid0(VALU_DEP_3) | instskip(NEXT) | instid1(VALU_DEP_1)
	v_dual_add_f32 v0, v25, v0 :: v_dual_add_f32 v53, v135, v53
	v_dual_add_f32 v43, v63, v61 :: v_dual_add_f32 v0, v24, v0
	s_delay_alu instid0(VALU_DEP_1) | instskip(NEXT) | instid1(VALU_DEP_2)
	v_dual_add_f32 v53, v118, v53 :: v_dual_add_f32 v26, v45, v43
	v_add_f32_e32 v0, v23, v0
	v_fma_f32 v23, 0x3f6eb680, v27, -v160
	v_fma_f32 v27, 0xbf7ba420, v27, -v66
	s_delay_alu instid0(VALU_DEP_4) | instskip(SKIP_3) | instid1(VALU_DEP_2)
	v_add_f32_e32 v53, v109, v53
	v_add_f32_e32 v25, v41, v26
	v_fma_f32 v26, 0x3ee437d1, v28, -v159
	v_add_f32_e32 v0, v22, v0
	v_dual_add_f32 v24, v26, v25 :: v_dual_and_b32 v25, 0xffff, v39
	v_add_f32_e32 v26, v64, v1
	s_delay_alu instid0(VALU_DEP_3) | instskip(NEXT) | instid1(VALU_DEP_3)
	v_dual_add_f32 v20, v21, v0 :: v_dual_add_f32 v1, v94, v46
	v_add_f32_e32 v0, v23, v24
	s_delay_alu instid0(VALU_DEP_4) | instskip(SKIP_1) | instid1(VALU_DEP_4)
	v_mul_u32_u24_e32 v22, 0x198, v25
	v_lshlrev_b32_e32 v25, 3, v35
	v_dual_add_f32 v21, v70, v26 :: v_dual_add_f32 v20, v27, v20
	s_delay_alu instid0(VALU_DEP_2)
	v_add3_u32 v22, 0, v22, v25
	ds_store_2addr_b64 v22, v[47:48], v[54:55] offset1:3
	ds_store_2addr_b64 v22, v[18:19], v[16:17] offset0:6 offset1:9
	ds_store_2addr_b64 v22, v[14:15], v[12:13] offset0:12 offset1:15
	ds_store_2addr_b64 v22, v[10:11], v[8:9] offset0:18 offset1:21
	ds_store_2addr_b64 v22, v[6:7], v[4:5] offset0:24 offset1:27
	ds_store_2addr_b64 v22, v[50:51], v[2:3] offset0:30 offset1:33
	ds_store_2addr_b64 v22, v[52:53], v[56:57] offset0:36 offset1:39
	ds_store_2addr_b64 v22, v[58:59], v[0:1] offset0:42 offset1:45
	ds_store_b64 v22, v[20:21] offset:384
.LBB0_19:
	s_wait_alu 0xfffe
	s_or_b32 exec_lo, exec_lo, s1
	v_mul_u32_u24_e32 v0, 6, v34
	global_wb scope:SCOPE_SE
	s_wait_dscnt 0x0
	s_barrier_signal -1
	s_barrier_wait -1
	global_inv scope:SCOPE_SE
	v_dual_mov_b32 v35, 0 :: v_dual_lshlrev_b32 v0, 3, v0
	v_add_nc_u32_e32 v14, 0x1000, v49
	v_lshl_add_u32 v16, v44, 3, 0
	v_lshl_add_u32 v17, v42, 3, 0
	s_clause 0x2
	global_load_b128 v[20:23], v0, s[8:9] offset:384
	global_load_b128 v[24:27], v0, s[8:9] offset:400
	;; [unrolled: 1-line block ×3, first 2 shown]
	v_mov_b32_e32 v41, v35
	v_add_nc_u32_e32 v15, 0x400, v49
	v_add_nc_u32_e32 v19, 0x800, v49
	ds_load_2addr_b64 v[0:3], v49 offset1:153
	v_lshl_add_u32 v18, v40, 3, 0
	ds_load_2addr_b64 v[50:53], v15 offset0:127 offset1:178
	ds_load_2addr_b64 v[54:57], v19 offset0:101 offset1:152
	;; [unrolled: 1-line block ×4, first 2 shown]
	ds_load_b64 v[46:47], v16
	ds_load_b64 v[66:67], v18
	;; [unrolled: 1-line block ×3, first 2 shown]
	ds_load_b64 v[70:71], v49 offset:5304
	v_lshlrev_b64_e32 v[4:5], 3, v[34:35]
	v_dual_mov_b32 v43, v35 :: v_dual_add_nc_u32 v72, 0xc00, v49
	v_lshlrev_b64_e32 v[6:7], 3, v[40:41]
	v_mov_b32_e32 v39, v35
	v_mov_b32_e32 v45, v35
	v_add_co_u32 v12, s0, s8, v4
	v_lshlrev_b64_e32 v[8:9], 3, v[42:43]
	s_wait_alu 0xf1ff
	v_add_co_ci_u32_e64 v13, s0, s9, v5, s0
	v_add_co_u32 v10, s0, s8, v6
	s_wait_alu 0xf1ff
	v_add_co_ci_u32_e64 v11, s0, s9, v7, s0
	v_add_co_u32 v8, s0, s8, v8
	s_wait_alu 0xf1ff
	v_add_co_ci_u32_e64 v9, s0, s9, v9, s0
	global_wb scope:SCOPE_SE
	s_wait_loadcnt_dscnt 0x0
	s_barrier_signal -1
	s_barrier_wait -1
	global_inv scope:SCOPE_SE
	v_mul_f32_e32 v78, v3, v21
	v_dual_mul_f32 v79, v51, v23 :: v_dual_mul_f32 v74, v61, v29
	v_lshlrev_b64_e32 v[41:42], 3, v[44:45]
	v_mul_f32_e32 v44, v25, v53
	s_delay_alu instid0(VALU_DEP_4)
	v_fmac_f32_e32 v78, v2, v20
	v_lshlrev_b64_e32 v[39:40], 3, v[38:39]
	v_mul_f32_e32 v43, v23, v46
	v_mul_f32_e32 v45, v25, v52
	;; [unrolled: 1-line block ×3, first 2 shown]
	v_dual_mul_f32 v77, v64, v31 :: v_dual_mul_f32 v80, v55, v25
	v_add_co_u32 v6, s0, s8, v39
	s_wait_alu 0xf1ff
	v_add_co_ci_u32_e64 v7, s0, s9, v40, s0
	v_dual_mul_f32 v40, v23, v47 :: v_dual_mul_f32 v35, v21, v69
	v_dual_mul_f32 v23, v50, v23 :: v_dual_mul_f32 v82, v63, v29
	v_mul_f32_e32 v83, v71, v31
	v_dual_mul_f32 v39, v21, v68 :: v_dual_mul_f32 v48, v27, v57
	v_dual_mul_f32 v73, v27, v56 :: v_dual_fmac_f32 v76, v64, v30
	v_mul_f32_e32 v75, v60, v29
	v_dual_mul_f32 v21, v2, v21 :: v_dual_fmac_f32 v74, v60, v28
	v_dual_mul_f32 v81, v59, v27 :: v_dual_fmac_f32 v80, v54, v24
	v_fmac_f32_e32 v40, v22, v46
	v_mul_f32_e32 v29, v62, v29
	v_mul_f32_e32 v31, v70, v31
	v_fmac_f32_e32 v82, v62, v28
	v_fmac_f32_e32 v83, v70, v30
	;; [unrolled: 1-line block ×3, first 2 shown]
	v_mul_f32_e32 v25, v54, v25
	v_mul_f32_e32 v27, v58, v27
	v_fma_f32 v39, v20, v69, -v39
	v_fmac_f32_e32 v44, v24, v52
	v_fma_f32 v43, v22, v47, -v43
	v_fma_f32 v45, v24, v53, -v45
	v_fmac_f32_e32 v48, v26, v56
	v_fma_f32 v46, v26, v57, -v73
	v_fma_f32 v47, v61, v28, -v75
	;; [unrolled: 1-line block ×4, first 2 shown]
	v_fmac_f32_e32 v79, v50, v22
	v_fma_f32 v3, v51, v22, -v23
	v_fma_f32 v20, v55, v24, -v25
	;; [unrolled: 1-line block ×3, first 2 shown]
	v_fmac_f32_e32 v81, v58, v26
	v_fma_f32 v22, v63, v28, -v29
	v_fma_f32 v23, v71, v30, -v31
	v_add_f32_e32 v24, v35, v76
	v_add_f32_e32 v50, v20, v21
	v_sub_f32_e32 v26, v35, v76
	v_dual_sub_f32 v27, v39, v52 :: v_dual_add_f32 v28, v40, v74
	v_dual_add_f32 v29, v43, v47 :: v_dual_sub_f32 v20, v21, v20
	v_dual_sub_f32 v30, v40, v74 :: v_dual_sub_f32 v31, v43, v47
	v_add_f32_e32 v35, v44, v48
	v_sub_f32_e32 v40, v48, v44
	v_dual_sub_f32 v48, v79, v82 :: v_dual_sub_f32 v43, v46, v45
	v_add_f32_e32 v47, v3, v22
	v_dual_sub_f32 v3, v3, v22 :: v_dual_add_f32 v22, v80, v81
	v_add_f32_e32 v25, v39, v52
	v_dual_add_f32 v39, v45, v46 :: v_dual_add_f32 v44, v78, v83
	v_sub_f32_e32 v46, v78, v83
	s_delay_alu instid0(VALU_DEP_3)
	v_dual_add_f32 v45, v2, v23 :: v_dual_sub_f32 v54, v29, v25
	v_dual_sub_f32 v2, v2, v23 :: v_dual_add_f32 v23, v79, v82
	v_dual_add_f32 v52, v29, v25 :: v_dual_add_f32 v21, v28, v24
	v_sub_f32_e32 v53, v28, v24
	v_sub_f32_e32 v24, v24, v35
	v_sub_f32_e32 v28, v35, v28
	v_dual_sub_f32 v51, v81, v80 :: v_dual_add_f32 v56, v43, v31
	v_sub_f32_e32 v58, v43, v31
	v_add_f32_e32 v64, v20, v3
	v_dual_sub_f32 v25, v25, v39 :: v_dual_add_f32 v60, v47, v45
	v_dual_add_f32 v55, v40, v30 :: v_dual_sub_f32 v62, v47, v45
	v_dual_sub_f32 v57, v40, v30 :: v_dual_sub_f32 v40, v26, v40
	v_dual_add_f32 v59, v23, v44 :: v_dual_sub_f32 v68, v20, v3
	v_sub_f32_e32 v45, v45, v50
	v_dual_sub_f32 v29, v39, v29 :: v_dual_sub_f32 v30, v30, v26
	v_dual_sub_f32 v61, v23, v44 :: v_dual_sub_f32 v44, v44, v22
	v_dual_sub_f32 v23, v22, v23 :: v_dual_add_f32 v26, v55, v26
	v_add_f32_e32 v63, v51, v48
	v_dual_mul_f32 v55, 0x3f08b237, v58 :: v_dual_add_f32 v22, v22, v59
	v_dual_add_f32 v58, v64, v2 :: v_dual_sub_f32 v47, v50, v47
	v_mul_f32_e32 v45, 0x3f4a47b2, v45
	v_sub_f32_e32 v43, v27, v43
	v_sub_f32_e32 v65, v51, v48
	v_dual_sub_f32 v51, v46, v51 :: v_dual_mul_f32 v44, 0x3f4a47b2, v44
	v_sub_f32_e32 v20, v2, v20
	v_sub_f32_e32 v48, v48, v46
	v_dual_sub_f32 v69, v3, v2 :: v_dual_add_f32 v50, v50, v60
	v_dual_add_f32 v21, v35, v21 :: v_dual_mul_f32 v64, 0x3f08b237, v68
	s_delay_alu instid0(VALU_DEP_2)
	v_dual_add_f32 v35, v39, v52 :: v_dual_mul_f32 v68, 0xbf5ff5aa, v69
	v_dual_mul_f32 v3, 0x3f4a47b2, v24 :: v_dual_add_f32 v2, v22, v66
	v_dual_mul_f32 v24, 0x3f4a47b2, v25 :: v_dual_sub_f32 v31, v31, v27
	v_mul_f32_e32 v52, 0x3f08b237, v57
	v_add_f32_e32 v46, v63, v46
	v_dual_mul_f32 v60, 0x3d64c772, v47 :: v_dual_fmamk_f32 v47, v47, 0x3d64c772, v45
	v_mul_f32_e32 v39, 0x3d64c772, v29
	v_dual_add_f32 v27, v56, v27 :: v_dual_add_f32 v0, v21, v0
	v_dual_mul_f32 v25, 0x3d64c772, v28 :: v_dual_fmamk_f32 v28, v28, 0x3d64c772, v3
	v_mul_f32_e32 v56, 0xbf5ff5aa, v30
	s_delay_alu instid0(VALU_DEP_4)
	v_fma_f32 v39, 0x3f3bfb3b, v54, -v39
	v_mul_f32_e32 v57, 0xbf5ff5aa, v31
	v_fma_f32 v30, 0xbf5ff5aa, v30, -v52
	v_fma_f32 v31, 0xbf5ff5aa, v31, -v55
	v_add_f32_e32 v1, v35, v1
	v_fma_f32 v25, 0x3f3bfb3b, v53, -v25
	v_fmamk_f32 v70, v43, 0xbeae86e6, v55
	v_fma_f32 v43, 0x3eae86e6, v43, -v57
	v_fma_f32 v55, 0x3f3bfb3b, v62, -v60
	;; [unrolled: 1-line block ×3, first 2 shown]
	v_dual_fmac_f32 v30, 0xbee1c552, v26 :: v_dual_fmac_f32 v31, 0xbee1c552, v27
	v_fmamk_f32 v57, v20, 0xbeae86e6, v64
	v_fmamk_f32 v20, v21, 0xbf955555, v0
	v_fma_f32 v53, 0xbf3bfb3b, v53, -v3
	v_add_f32_e32 v3, v50, v67
	s_delay_alu instid0(VALU_DEP_4)
	v_dual_fmac_f32 v70, 0xbee1c552, v27 :: v_dual_fmac_f32 v57, 0xbee1c552, v58
	v_fmac_f32_e32 v43, 0xbee1c552, v27
	v_dual_fmamk_f32 v22, v22, 0xbf955555, v2 :: v_dual_add_f32 v27, v25, v20
	v_fmamk_f32 v29, v29, 0x3d64c772, v24
	v_fma_f32 v24, 0xbf3bfb3b, v54, -v24
	v_fmamk_f32 v54, v40, 0xbeae86e6, v52
	v_fmamk_f32 v21, v35, 0xbf955555, v1
	v_add_f32_e32 v35, v28, v20
	v_mul_f32_e32 v63, 0x3f08b237, v65
	v_fma_f32 v40, 0x3eae86e6, v40, -v56
	v_fmac_f32_e32 v54, 0xbee1c552, v26
	v_dual_mul_f32 v59, 0x3d64c772, v23 :: v_dual_add_f32 v28, v39, v21
	s_delay_alu instid0(VALU_DEP_4) | instskip(NEXT) | instid1(VALU_DEP_4)
	v_fmamk_f32 v56, v51, 0xbeae86e6, v63
	v_dual_fmac_f32 v40, 0xbee1c552, v26 :: v_dual_add_f32 v39, v24, v21
	v_sub_f32_e32 v24, v27, v31
	s_delay_alu instid0(VALU_DEP_4) | instskip(NEXT) | instid1(VALU_DEP_4)
	v_fma_f32 v52, 0x3f3bfb3b, v61, -v59
	v_fmac_f32_e32 v56, 0xbee1c552, v46
	v_mul_f32_e32 v65, 0xbf5ff5aa, v48
	v_fma_f32 v48, 0xbf5ff5aa, v48, -v63
	v_fma_f32 v59, 0xbf5ff5aa, v69, -v64
	v_dual_fmac_f32 v60, 0xbee1c552, v58 :: v_dual_add_f32 v25, v30, v28
	s_delay_alu instid0(VALU_DEP_4) | instskip(NEXT) | instid1(VALU_DEP_4)
	v_fma_f32 v51, 0x3eae86e6, v51, -v65
	v_fmac_f32_e32 v48, 0xbee1c552, v46
	s_delay_alu instid0(VALU_DEP_2)
	v_dual_fmac_f32 v51, 0xbee1c552, v46 :: v_dual_add_f32 v46, v29, v21
	v_add_f32_e32 v29, v53, v20
	v_fmamk_f32 v23, v23, 0x3d64c772, v44
	v_fmamk_f32 v26, v50, 0xbf955555, v3
	v_fma_f32 v44, 0xbf3bfb3b, v61, -v44
	v_add_f32_e32 v20, v70, v35
	v_sub_f32_e32 v21, v46, v54
	s_delay_alu instid0(VALU_DEP_4) | instskip(SKIP_1) | instid1(VALU_DEP_1)
	v_add_f32_e32 v50, v55, v26
	v_fma_f32 v45, 0xbf3bfb3b, v62, -v45
	v_add_f32_e32 v55, v45, v26
	v_fmac_f32_e32 v59, 0xbee1c552, v58
	v_add_f32_e32 v58, v47, v26
	v_dual_add_f32 v26, v31, v27 :: v_dual_sub_f32 v27, v28, v30
	v_dual_sub_f32 v28, v29, v43 :: v_dual_add_f32 v53, v23, v22
	v_add_f32_e32 v47, v52, v22
	v_add_f32_e32 v52, v44, v22
	;; [unrolled: 1-line block ×3, first 2 shown]
	v_sub_f32_e32 v23, v39, v40
	v_dual_add_f32 v29, v40, v39 :: v_dual_sub_f32 v30, v35, v70
	v_add_f32_e32 v31, v54, v46
	v_dual_add_f32 v39, v57, v53 :: v_dual_add_f32 v46, v48, v50
	v_sub_f32_e32 v40, v58, v56
	v_add_f32_e32 v43, v60, v52
	v_sub_f32_e32 v48, v50, v48
	v_sub_f32_e32 v50, v52, v60
	;; [unrolled: 1-line block ×3, first 2 shown]
	v_dual_add_f32 v51, v51, v55 :: v_dual_sub_f32 v52, v53, v57
	v_sub_f32_e32 v45, v47, v59
	v_add_f32_e32 v47, v59, v47
	v_add_f32_e32 v53, v56, v58
	ds_store_2addr_b64 v49, v[0:1], v[20:21] offset1:51
	ds_store_2addr_b64 v49, v[22:23], v[24:25] offset0:102 offset1:153
	ds_store_2addr_b64 v49, v[26:27], v[28:29] offset0:204 offset1:255
	;; [unrolled: 1-line block ×6, first 2 shown]
	v_add_co_u32 v0, s0, s8, v41
	s_wait_alu 0xf1ff
	v_add_co_ci_u32_e64 v1, s0, s9, v42, s0
	global_wb scope:SCOPE_SE
	s_wait_dscnt 0x0
	s_barrier_signal -1
	s_barrier_wait -1
	global_inv scope:SCOPE_SE
	s_clause 0x6
	global_load_b64 v[2:3], v[12:13], off offset:2832
	global_load_b64 v[43:44], v[10:11], off offset:2832
	;; [unrolled: 1-line block ×7, first 2 shown]
	ds_load_2addr_b64 v[20:23], v19 offset0:50 offset1:101
	ds_load_2addr_b64 v[24:27], v19 offset0:152 offset1:203
	ds_load_b64 v[56:57], v16
	ds_load_b64 v[58:59], v49 offset:4080
	ds_load_2addr_b32 v[60:61], v14 offset0:98 offset1:99
	v_lshl_add_u32 v19, v38, 3, 0
	ds_load_2addr_b64 v[28:31], v14 offset0:100 offset1:151
	ds_load_b64 v[62:63], v17
	ds_load_b64 v[64:65], v18
	ds_load_2addr_b64 v[38:41], v49 offset1:255
	ds_load_b64 v[66:67], v19
	global_wb scope:SCOPE_SE
	s_wait_loadcnt_dscnt 0x0
	s_barrier_signal -1
	s_barrier_wait -1
	global_inv scope:SCOPE_SE
	v_cmp_ne_u32_e64 s0, 0, v34
	v_mul_f32_e32 v68, v46, v27
	v_mul_f32_e32 v46, v46, v26
	;; [unrolled: 1-line block ×3, first 2 shown]
	v_dual_mul_f32 v35, v3, v23 :: v_dual_mul_f32 v42, v44, v25
	v_mul_f32_e32 v72, v31, v55
	v_mul_f32_e32 v69, v48, v59
	;; [unrolled: 1-line block ×3, first 2 shown]
	v_fmac_f32_e32 v70, v50, v60
	v_fmac_f32_e32 v35, v2, v22
	v_mul_f32_e32 v3, v3, v22
	v_dual_fmac_f32 v42, v43, v24 :: v_dual_mul_f32 v71, v29, v53
	v_fmac_f32_e32 v72, v30, v54
	v_mul_f32_e32 v44, v44, v24
	v_mul_f32_e32 v48, v48, v58
	s_delay_alu instid0(VALU_DEP_4)
	v_dual_sub_f32 v22, v64, v42 :: v_dual_mul_f32 v55, v30, v55
	v_fma_f32 v3, v2, v23, -v3
	v_dual_fmac_f32 v68, v45, v26 :: v_dual_mul_f32 v53, v28, v53
	v_dual_fmac_f32 v69, v47, v58 :: v_dual_sub_f32 v42, v20, v72
	v_fmac_f32_e32 v71, v28, v52
	v_fma_f32 v23, v43, v25, -v44
	v_fma_f32 v25, v45, v27, -v46
	s_delay_alu instid0(VALU_DEP_4)
	v_sub_f32_e32 v26, v66, v69
	v_fma_f32 v27, v47, v59, -v48
	v_fma_f32 v43, v61, v50, -v51
	v_dual_sub_f32 v3, v39, v3 :: v_dual_sub_f32 v24, v62, v68
	v_fma_f32 v44, v29, v52, -v53
	v_sub_f32_e32 v28, v56, v70
	v_fma_f32 v45, v31, v54, -v55
	v_sub_f32_e32 v30, v40, v71
	v_sub_f32_e32 v2, v38, v35
	;; [unrolled: 1-line block ×8, first 2 shown]
	v_fma_f32 v38, v38, 2.0, -v2
	v_fma_f32 v39, v39, 2.0, -v3
	;; [unrolled: 1-line block ×14, first 2 shown]
	ds_store_b64 v49, v[38:39]
	ds_store_b64 v49, v[2:3] offset:2856
	ds_store_b64 v18, v[44:45]
	ds_store_b64 v18, v[22:23] offset:2856
	ds_store_b64 v17, v[46:47]
	ds_store_b64 v17, v[24:25] offset:2856
	ds_store_b64 v19, v[50:51]
	ds_store_b64 v19, v[26:27] offset:2856
	ds_store_b64 v16, v[52:53]
	ds_store_b64 v16, v[28:29] offset:2856
	ds_store_2addr_b64 v15, v[40:41], v[20:21] offset0:127 offset1:178
	ds_store_2addr_b64 v14, v[30:31], v[42:43] offset0:100 offset1:151
	v_lshlrev_b32_e32 v2, 3, v34
	global_wb scope:SCOPE_SE
	s_wait_dscnt 0x0
	s_barrier_signal -1
	s_barrier_wait -1
	global_inv scope:SCOPE_SE
	ds_load_b64 v[14:15], v49
	v_sub_nc_u32_e32 v20, 0, v2
                                        ; implicit-def: $vgpr2
                                        ; implicit-def: $vgpr21
                                        ; implicit-def: $vgpr22
	s_and_saveexec_b32 s1, s0
	s_wait_alu 0xfffe
	s_xor_b32 s0, exec_lo, s1
	s_cbranch_execz .LBB0_21
; %bb.20:
	global_load_b64 v[12:13], v[12:13], off offset:5688
	ds_load_b64 v[2:3], v20 offset:5712
	s_wait_dscnt 0x0
	v_dual_sub_f32 v21, v14, v2 :: v_dual_add_f32 v22, v3, v15
	v_dual_sub_f32 v3, v15, v3 :: v_dual_add_f32 v2, v2, v14
	s_delay_alu instid0(VALU_DEP_2) | instskip(NEXT) | instid1(VALU_DEP_2)
	v_dual_mul_f32 v15, 0.5, v21 :: v_dual_mul_f32 v14, 0.5, v22
	v_mul_f32_e32 v3, 0.5, v3
	s_wait_loadcnt 0x0
	s_delay_alu instid0(VALU_DEP_2) | instskip(NEXT) | instid1(VALU_DEP_2)
	v_mul_f32_e32 v22, v13, v15
	v_fma_f32 v23, v14, v13, v3
	v_fma_f32 v3, v14, v13, -v3
	s_delay_alu instid0(VALU_DEP_3) | instskip(NEXT) | instid1(VALU_DEP_2)
	v_fma_f32 v21, 0.5, v2, v22
	v_fma_f32 v3, -v12, v15, v3
	s_delay_alu instid0(VALU_DEP_2) | instskip(SKIP_2) | instid1(VALU_DEP_2)
	v_fmac_f32_e32 v21, v12, v14
	v_fma_f32 v2, v2, 0.5, -v22
	v_fma_f32 v22, -v12, v15, v23
	v_fma_f32 v2, -v12, v14, v2
                                        ; implicit-def: $vgpr14_vgpr15
.LBB0_21:
	s_wait_alu 0xfffe
	s_and_not1_saveexec_b32 s0, s0
	s_cbranch_execz .LBB0_23
; %bb.22:
	s_wait_dscnt 0x0
	v_dual_mov_b32 v22, 0 :: v_dual_add_f32 v21, v14, v15
	v_sub_f32_e32 v2, v14, v15
	ds_load_b32 v3, v22 offset:2860
	s_wait_dscnt 0x0
	v_xor_b32_e32 v12, 0x80000000, v3
	v_mov_b32_e32 v3, 0
	ds_store_b32 v22, v12 offset:2860
.LBB0_23:
	s_wait_alu 0xfffe
	s_or_b32 exec_lo, exec_lo, s0
	s_clause 0x3
	global_load_b64 v[10:11], v[10:11], off offset:5688
	global_load_b64 v[8:9], v[8:9], off offset:5688
	;; [unrolled: 1-line block ×4, first 2 shown]
	s_add_nc_u64 s[0:1], s[8:9], 0x1638
	s_wait_alu 0xfffe
	v_add_co_u32 v4, s0, s0, v4
	s_wait_alu 0xf1ff
	v_add_co_ci_u32_e64 v5, s0, s1, v5, s0
	s_clause 0x1
	global_load_b64 v[12:13], v[4:5], off offset:2040
	global_load_b64 v[4:5], v[4:5], off offset:2448
	ds_store_2addr_b32 v49, v21, v22 offset1:1
	ds_store_b64 v20, v[2:3] offset:5712
	ds_load_b64 v[2:3], v18
	s_wait_dscnt 0x3
	ds_load_b64 v[14:15], v20 offset:5304
	s_wait_dscnt 0x0
	v_dual_sub_f32 v21, v2, v14 :: v_dual_add_f32 v22, v3, v15
	v_dual_sub_f32 v3, v3, v15 :: v_dual_add_f32 v2, v2, v14
	s_delay_alu instid0(VALU_DEP_2) | instskip(NEXT) | instid1(VALU_DEP_3)
	v_mul_f32_e32 v15, 0.5, v21
	v_mul_f32_e32 v21, 0.5, v22
	s_delay_alu instid0(VALU_DEP_3) | instskip(SKIP_1) | instid1(VALU_DEP_3)
	v_mul_f32_e32 v3, 0.5, v3
	s_wait_loadcnt 0x5
	v_mul_f32_e32 v14, v11, v15
	s_delay_alu instid0(VALU_DEP_2) | instskip(SKIP_1) | instid1(VALU_DEP_3)
	v_fma_f32 v22, v21, v11, v3
	v_fma_f32 v3, v21, v11, -v3
	v_fma_f32 v11, 0.5, v2, v14
	v_fma_f32 v2, v2, 0.5, -v14
	s_delay_alu instid0(VALU_DEP_4) | instskip(NEXT) | instid1(VALU_DEP_4)
	v_fma_f32 v14, -v10, v15, v22
	v_fma_f32 v3, -v10, v15, v3
	s_delay_alu instid0(VALU_DEP_4) | instskip(NEXT) | instid1(VALU_DEP_4)
	v_fmac_f32_e32 v11, v10, v21
	v_fma_f32 v2, -v10, v21, v2
	ds_store_2addr_b32 v18, v11, v14 offset1:1
	ds_store_b64 v20, v[2:3] offset:5304
	ds_load_b64 v[2:3], v17
	ds_load_b64 v[10:11], v20 offset:4896
	s_wait_dscnt 0x0
	v_dual_sub_f32 v14, v2, v10 :: v_dual_add_f32 v15, v3, v11
	v_dual_sub_f32 v3, v3, v11 :: v_dual_add_f32 v2, v2, v10
	s_delay_alu instid0(VALU_DEP_2) | instskip(NEXT) | instid1(VALU_DEP_2)
	v_dual_mul_f32 v11, 0.5, v14 :: v_dual_mul_f32 v14, 0.5, v15
	v_mul_f32_e32 v3, 0.5, v3
	s_wait_loadcnt 0x4
	s_delay_alu instid0(VALU_DEP_2) | instskip(NEXT) | instid1(VALU_DEP_2)
	v_mul_f32_e32 v10, v9, v11
	v_fma_f32 v15, v14, v9, v3
	v_fma_f32 v3, v14, v9, -v3
	s_delay_alu instid0(VALU_DEP_3) | instskip(NEXT) | instid1(VALU_DEP_2)
	v_fma_f32 v9, 0.5, v2, v10
	v_fma_f32 v3, -v8, v11, v3
	s_delay_alu instid0(VALU_DEP_2) | instskip(SKIP_2) | instid1(VALU_DEP_2)
	v_fmac_f32_e32 v9, v8, v14
	v_fma_f32 v2, v2, 0.5, -v10
	v_fma_f32 v10, -v8, v11, v15
	v_fma_f32 v2, -v8, v14, v2
	ds_store_2addr_b32 v17, v9, v10 offset1:1
	ds_store_b64 v20, v[2:3] offset:4896
	ds_load_b64 v[2:3], v19
	ds_load_b64 v[8:9], v20 offset:4488
	s_wait_dscnt 0x0
	v_dual_sub_f32 v10, v2, v8 :: v_dual_add_f32 v11, v3, v9
	v_dual_sub_f32 v3, v3, v9 :: v_dual_add_f32 v2, v2, v8
	s_delay_alu instid0(VALU_DEP_2) | instskip(SKIP_1) | instid1(VALU_DEP_1)
	v_dual_mul_f32 v9, 0.5, v10 :: v_dual_mul_f32 v10, 0.5, v11
	s_wait_loadcnt 0x3
	v_dual_mul_f32 v3, 0.5, v3 :: v_dual_mul_f32 v8, v7, v9
	s_delay_alu instid0(VALU_DEP_1) | instskip(SKIP_1) | instid1(VALU_DEP_3)
	v_fma_f32 v11, v10, v7, v3
	v_fma_f32 v3, v10, v7, -v3
	v_fma_f32 v7, 0.5, v2, v8
	v_fma_f32 v2, v2, 0.5, -v8
	s_delay_alu instid0(VALU_DEP_4) | instskip(NEXT) | instid1(VALU_DEP_4)
	v_fma_f32 v8, -v6, v9, v11
	v_fma_f32 v3, -v6, v9, v3
	s_delay_alu instid0(VALU_DEP_4) | instskip(NEXT) | instid1(VALU_DEP_4)
	v_fmac_f32_e32 v7, v6, v10
	v_fma_f32 v2, -v6, v10, v2
	ds_store_2addr_b32 v19, v7, v8 offset1:1
	ds_store_b64 v20, v[2:3] offset:4488
	ds_load_b64 v[2:3], v16
	ds_load_b64 v[6:7], v20 offset:4080
	s_wait_dscnt 0x0
	v_dual_sub_f32 v8, v2, v6 :: v_dual_add_f32 v9, v3, v7
	v_dual_sub_f32 v3, v3, v7 :: v_dual_add_f32 v2, v2, v6
	s_delay_alu instid0(VALU_DEP_2) | instskip(NEXT) | instid1(VALU_DEP_2)
	v_dual_mul_f32 v7, 0.5, v8 :: v_dual_mul_f32 v8, 0.5, v9
	v_mul_f32_e32 v3, 0.5, v3
	s_wait_loadcnt 0x2
	s_delay_alu instid0(VALU_DEP_2) | instskip(NEXT) | instid1(VALU_DEP_2)
	v_mul_f32_e32 v6, v1, v7
	v_fma_f32 v9, v8, v1, v3
	v_fma_f32 v1, v8, v1, -v3
	s_delay_alu instid0(VALU_DEP_3) | instskip(SKIP_1) | instid1(VALU_DEP_4)
	v_fma_f32 v3, 0.5, v2, v6
	v_fma_f32 v2, v2, 0.5, -v6
	v_fma_f32 v6, -v0, v7, v9
	s_delay_alu instid0(VALU_DEP_4) | instskip(NEXT) | instid1(VALU_DEP_4)
	v_fma_f32 v1, -v0, v7, v1
	v_fmac_f32_e32 v3, v0, v8
	s_delay_alu instid0(VALU_DEP_4)
	v_fma_f32 v0, -v0, v8, v2
	ds_store_2addr_b32 v16, v3, v6 offset1:1
	ds_store_b64 v20, v[0:1] offset:4080
	ds_load_b64 v[0:1], v49 offset:2040
	ds_load_b64 v[2:3], v20 offset:3672
	s_wait_dscnt 0x0
	v_dual_sub_f32 v6, v0, v2 :: v_dual_add_f32 v7, v1, v3
	v_dual_sub_f32 v1, v1, v3 :: v_dual_add_f32 v0, v0, v2
	s_delay_alu instid0(VALU_DEP_2) | instskip(SKIP_1) | instid1(VALU_DEP_1)
	v_dual_mul_f32 v3, 0.5, v6 :: v_dual_mul_f32 v6, 0.5, v7
	s_wait_loadcnt 0x1
	v_dual_mul_f32 v1, 0.5, v1 :: v_dual_mul_f32 v2, v13, v3
	s_delay_alu instid0(VALU_DEP_1) | instskip(SKIP_1) | instid1(VALU_DEP_3)
	v_fma_f32 v7, v6, v13, v1
	v_fma_f32 v1, v6, v13, -v1
	v_fma_f32 v8, 0.5, v0, v2
	v_fma_f32 v0, v0, 0.5, -v2
	v_add_nc_u32_e32 v2, 0x400, v49
	v_fma_f32 v7, -v12, v3, v7
	v_fma_f32 v1, -v12, v3, v1
	v_fmac_f32_e32 v8, v12, v6
	v_fma_f32 v0, -v12, v6, v0
	ds_store_2addr_b32 v2, v8, v7 offset0:254 offset1:255
	ds_store_b64 v20, v[0:1] offset:3672
	ds_load_b64 v[0:1], v49 offset:2448
	ds_load_b64 v[2:3], v20 offset:3264
	s_wait_dscnt 0x0
	v_dual_sub_f32 v6, v0, v2 :: v_dual_add_f32 v7, v1, v3
	v_dual_sub_f32 v1, v1, v3 :: v_dual_add_f32 v0, v0, v2
	s_delay_alu instid0(VALU_DEP_2) | instskip(SKIP_1) | instid1(VALU_DEP_1)
	v_dual_mul_f32 v3, 0.5, v6 :: v_dual_mul_f32 v6, 0.5, v7
	s_wait_loadcnt 0x0
	v_dual_mul_f32 v1, 0.5, v1 :: v_dual_mul_f32 v2, v5, v3
	s_delay_alu instid0(VALU_DEP_1) | instskip(SKIP_1) | instid1(VALU_DEP_3)
	v_fma_f32 v7, v6, v5, v1
	v_fma_f32 v1, v6, v5, -v1
	v_fma_f32 v5, 0.5, v0, v2
	v_fma_f32 v0, v0, 0.5, -v2
	v_add_nc_u32_e32 v2, 0x800, v49
	v_fma_f32 v7, -v4, v3, v7
	v_fma_f32 v1, -v4, v3, v1
	v_fmac_f32_e32 v5, v4, v6
	v_fma_f32 v0, -v4, v6, v0
	ds_store_2addr_b32 v2, v5, v7 offset0:100 offset1:101
	ds_store_b64 v20, v[0:1] offset:3264
	global_wb scope:SCOPE_SE
	s_wait_dscnt 0x0
	s_barrier_signal -1
	s_barrier_wait -1
	global_inv scope:SCOPE_SE
	s_and_saveexec_b32 s0, vcc_lo
	s_cbranch_execz .LBB0_26
; %bb.24:
	v_mul_lo_u32 v2, s3, v36
	v_mul_lo_u32 v3, s2, v37
	v_mad_co_u64_u32 v[0:1], null, s2, v36, 0
	v_dual_mov_b32 v35, 0 :: v_dual_add_nc_u32 v12, 51, v34
	v_lshlrev_b64_e32 v[10:11], 3, v[32:33]
	v_lshl_add_u32 v22, v34, 3, 0
	s_delay_alu instid0(VALU_DEP_3)
	v_dual_mov_b32 v13, v35 :: v_dual_add_nc_u32 v14, 0x66, v34
	v_add3_u32 v1, v1, v3, v2
	v_lshlrev_b64_e32 v[16:17], 3, v[34:35]
	v_mov_b32_e32 v15, v35
	ds_load_2addr_b64 v[2:5], v22 offset1:51
	ds_load_2addr_b64 v[6:9], v22 offset0:102 offset1:153
	v_lshlrev_b64_e32 v[0:1], 3, v[0:1]
	v_lshlrev_b64_e32 v[12:13], 3, v[12:13]
	v_mov_b32_e32 v19, v35
	v_add_nc_u32_e32 v23, 0x800, v22
	v_dual_mov_b32 v21, v35 :: v_dual_add_nc_u32 v20, 0x1cb, v34
	v_add_co_u32 v0, vcc_lo, s6, v0
	s_wait_alu 0xfffd
	v_add_co_ci_u32_e32 v1, vcc_lo, s7, v1, vcc_lo
	v_add_nc_u32_e32 v24, 0x1000, v22
	s_delay_alu instid0(VALU_DEP_3) | instskip(SKIP_1) | instid1(VALU_DEP_3)
	v_add_co_u32 v0, vcc_lo, v0, v10
	s_wait_alu 0xfffd
	v_add_co_ci_u32_e32 v1, vcc_lo, v1, v11, vcc_lo
	v_lshlrev_b64_e32 v[10:11], 3, v[14:15]
	s_delay_alu instid0(VALU_DEP_3) | instskip(SKIP_1) | instid1(VALU_DEP_3)
	v_add_co_u32 v14, vcc_lo, v0, v16
	s_wait_alu 0xfffd
	v_add_co_ci_u32_e32 v15, vcc_lo, v1, v17, vcc_lo
	v_dual_mov_b32 v17, v35 :: v_dual_add_nc_u32 v16, 0x99, v34
	v_add_nc_u32_e32 v18, 0xcc, v34
	v_add_co_u32 v12, vcc_lo, v0, v12
	s_wait_alu 0xfffd
	v_add_co_ci_u32_e32 v13, vcc_lo, v1, v13, vcc_lo
	v_lshlrev_b64_e32 v[16:17], 3, v[16:17]
	v_add_co_u32 v10, vcc_lo, v0, v10
	s_wait_alu 0xfffd
	v_add_co_ci_u32_e32 v11, vcc_lo, v1, v11, vcc_lo
	v_mov_b32_e32 v25, v35
	s_delay_alu instid0(VALU_DEP_4)
	v_add_co_u32 v16, vcc_lo, v0, v16
	s_wait_alu 0xfffd
	v_add_co_ci_u32_e32 v17, vcc_lo, v1, v17, vcc_lo
	s_wait_dscnt 0x1
	s_clause 0x1
	global_store_b64 v[14:15], v[2:3], off
	global_store_b64 v[12:13], v[4:5], off
	s_wait_dscnt 0x0
	s_clause 0x1
	global_store_b64 v[10:11], v[6:7], off
	global_store_b64 v[16:17], v[8:9], off
	v_add_nc_u32_e32 v8, 0xff, v34
	v_lshlrev_b64_e32 v[6:7], 3, v[18:19]
	v_dual_mov_b32 v9, v35 :: v_dual_add_nc_u32 v10, 0x132, v34
	ds_load_2addr_b64 v[2:5], v22 offset0:204 offset1:255
	v_dual_mov_b32 v11, v35 :: v_dual_add_nc_u32 v16, 0x165, v34
	v_add_co_u32 v12, vcc_lo, v0, v6
	s_wait_alu 0xfffd
	v_add_co_ci_u32_e32 v13, vcc_lo, v1, v7, vcc_lo
	v_lshlrev_b64_e32 v[14:15], 3, v[8:9]
	ds_load_2addr_b64 v[6:9], v23 offset0:50 offset1:101
	v_dual_mov_b32 v17, v35 :: v_dual_add_nc_u32 v18, 0x198, v34
	v_lshlrev_b64_e32 v[10:11], 3, v[10:11]
	v_add_co_u32 v14, vcc_lo, v0, v14
	s_delay_alu instid0(VALU_DEP_3) | instskip(SKIP_2) | instid1(VALU_DEP_4)
	v_lshlrev_b64_e32 v[16:17], 3, v[16:17]
	s_wait_alu 0xfffd
	v_add_co_ci_u32_e32 v15, vcc_lo, v1, v15, vcc_lo
	v_add_co_u32 v10, vcc_lo, v0, v10
	s_wait_alu 0xfffd
	v_add_co_ci_u32_e32 v11, vcc_lo, v1, v11, vcc_lo
	v_add_co_u32 v16, vcc_lo, v0, v16
	s_wait_alu 0xfffd
	v_add_co_ci_u32_e32 v17, vcc_lo, v1, v17, vcc_lo
	v_lshlrev_b64_e32 v[18:19], 3, v[18:19]
	s_wait_dscnt 0x1
	s_clause 0x1
	global_store_b64 v[12:13], v[2:3], off
	global_store_b64 v[14:15], v[4:5], off
	s_wait_dscnt 0x0
	s_clause 0x1
	global_store_b64 v[10:11], v[6:7], off
	global_store_b64 v[16:17], v[8:9], off
	v_dual_mov_b32 v11, v35 :: v_dual_add_nc_u32 v10, 0x1fe, v34
	v_lshlrev_b64_e32 v[6:7], 3, v[20:21]
	v_dual_mov_b32 v13, v35 :: v_dual_add_nc_u32 v8, 0xc00, v22
	v_add_co_u32 v14, vcc_lo, v0, v18
	s_delay_alu instid0(VALU_DEP_4)
	v_lshlrev_b64_e32 v[10:11], 3, v[10:11]
	s_wait_alu 0xfffd
	v_add_co_ci_u32_e32 v15, vcc_lo, v1, v19, vcc_lo
	v_dual_mov_b32 v19, v35 :: v_dual_add_nc_u32 v12, 0x231, v34
	v_add_co_u32 v16, vcc_lo, v0, v6
	s_wait_alu 0xfffd
	v_add_co_ci_u32_e32 v17, vcc_lo, v1, v7, vcc_lo
	v_add_nc_u32_e32 v18, 0x264, v34
	v_add_co_u32 v20, vcc_lo, v0, v10
	ds_load_2addr_b64 v[2:5], v23 offset0:152 offset1:203
	v_lshlrev_b64_e32 v[22:23], 3, v[12:13]
	s_wait_alu 0xfffd
	v_add_co_ci_u32_e32 v21, vcc_lo, v1, v11, vcc_lo
	ds_load_2addr_b64 v[10:13], v24 offset0:100 offset1:151
	v_add_nc_u32_e32 v24, 0x297, v34
	ds_load_2addr_b64 v[6:9], v8 offset0:126 offset1:177
	v_lshlrev_b64_e32 v[18:19], 3, v[18:19]
	v_add_co_u32 v22, vcc_lo, v0, v22
	v_lshlrev_b64_e32 v[24:25], 3, v[24:25]
	s_wait_alu 0xfffd
	v_add_co_ci_u32_e32 v23, vcc_lo, v1, v23, vcc_lo
	s_delay_alu instid0(VALU_DEP_4)
	v_add_co_u32 v18, vcc_lo, v0, v18
	s_wait_alu 0xfffd
	v_add_co_ci_u32_e32 v19, vcc_lo, v1, v19, vcc_lo
	v_add_co_u32 v24, vcc_lo, v0, v24
	s_wait_alu 0xfffd
	v_add_co_ci_u32_e32 v25, vcc_lo, v1, v25, vcc_lo
	v_cmp_eq_u32_e32 vcc_lo, 50, v34
	s_wait_dscnt 0x2
	s_clause 0x1
	global_store_b64 v[14:15], v[2:3], off
	global_store_b64 v[16:17], v[4:5], off
	s_wait_dscnt 0x0
	s_clause 0x3
	global_store_b64 v[20:21], v[6:7], off
	global_store_b64 v[22:23], v[8:9], off
	;; [unrolled: 1-line block ×4, first 2 shown]
	s_and_b32 exec_lo, exec_lo, vcc_lo
	s_cbranch_execz .LBB0_26
; %bb.25:
	ds_load_b64 v[2:3], v35 offset:5712
	s_wait_dscnt 0x0
	global_store_b64 v[0:1], v[2:3], off offset:5712
.LBB0_26:
	s_nop 0
	s_sendmsg sendmsg(MSG_DEALLOC_VGPRS)
	s_endpgm
	.section	.rodata,"a",@progbits
	.p2align	6, 0x0
	.amdhsa_kernel fft_rtc_back_len714_factors_3_17_7_2_wgs_51_tpt_51_halfLds_sp_op_CI_CI_unitstride_sbrr_R2C_dirReg
		.amdhsa_group_segment_fixed_size 0
		.amdhsa_private_segment_fixed_size 0
		.amdhsa_kernarg_size 104
		.amdhsa_user_sgpr_count 2
		.amdhsa_user_sgpr_dispatch_ptr 0
		.amdhsa_user_sgpr_queue_ptr 0
		.amdhsa_user_sgpr_kernarg_segment_ptr 1
		.amdhsa_user_sgpr_dispatch_id 0
		.amdhsa_user_sgpr_private_segment_size 0
		.amdhsa_wavefront_size32 1
		.amdhsa_uses_dynamic_stack 0
		.amdhsa_enable_private_segment 0
		.amdhsa_system_sgpr_workgroup_id_x 1
		.amdhsa_system_sgpr_workgroup_id_y 0
		.amdhsa_system_sgpr_workgroup_id_z 0
		.amdhsa_system_sgpr_workgroup_info 0
		.amdhsa_system_vgpr_workitem_id 0
		.amdhsa_next_free_vgpr 195
		.amdhsa_next_free_sgpr 39
		.amdhsa_reserve_vcc 1
		.amdhsa_float_round_mode_32 0
		.amdhsa_float_round_mode_16_64 0
		.amdhsa_float_denorm_mode_32 3
		.amdhsa_float_denorm_mode_16_64 3
		.amdhsa_fp16_overflow 0
		.amdhsa_workgroup_processor_mode 1
		.amdhsa_memory_ordered 1
		.amdhsa_forward_progress 0
		.amdhsa_round_robin_scheduling 0
		.amdhsa_exception_fp_ieee_invalid_op 0
		.amdhsa_exception_fp_denorm_src 0
		.amdhsa_exception_fp_ieee_div_zero 0
		.amdhsa_exception_fp_ieee_overflow 0
		.amdhsa_exception_fp_ieee_underflow 0
		.amdhsa_exception_fp_ieee_inexact 0
		.amdhsa_exception_int_div_zero 0
	.end_amdhsa_kernel
	.text
.Lfunc_end0:
	.size	fft_rtc_back_len714_factors_3_17_7_2_wgs_51_tpt_51_halfLds_sp_op_CI_CI_unitstride_sbrr_R2C_dirReg, .Lfunc_end0-fft_rtc_back_len714_factors_3_17_7_2_wgs_51_tpt_51_halfLds_sp_op_CI_CI_unitstride_sbrr_R2C_dirReg
                                        ; -- End function
	.section	.AMDGPU.csdata,"",@progbits
; Kernel info:
; codeLenInByte = 12756
; NumSgprs: 41
; NumVgprs: 195
; ScratchSize: 0
; MemoryBound: 0
; FloatMode: 240
; IeeeMode: 1
; LDSByteSize: 0 bytes/workgroup (compile time only)
; SGPRBlocks: 5
; VGPRBlocks: 24
; NumSGPRsForWavesPerEU: 41
; NumVGPRsForWavesPerEU: 195
; Occupancy: 7
; WaveLimiterHint : 1
; COMPUTE_PGM_RSRC2:SCRATCH_EN: 0
; COMPUTE_PGM_RSRC2:USER_SGPR: 2
; COMPUTE_PGM_RSRC2:TRAP_HANDLER: 0
; COMPUTE_PGM_RSRC2:TGID_X_EN: 1
; COMPUTE_PGM_RSRC2:TGID_Y_EN: 0
; COMPUTE_PGM_RSRC2:TGID_Z_EN: 0
; COMPUTE_PGM_RSRC2:TIDIG_COMP_CNT: 0
	.text
	.p2alignl 7, 3214868480
	.fill 96, 4, 3214868480
	.type	__hip_cuid_b50c546b5eb0113c,@object ; @__hip_cuid_b50c546b5eb0113c
	.section	.bss,"aw",@nobits
	.globl	__hip_cuid_b50c546b5eb0113c
__hip_cuid_b50c546b5eb0113c:
	.byte	0                               ; 0x0
	.size	__hip_cuid_b50c546b5eb0113c, 1

	.ident	"AMD clang version 19.0.0git (https://github.com/RadeonOpenCompute/llvm-project roc-6.4.0 25133 c7fe45cf4b819c5991fe208aaa96edf142730f1d)"
	.section	".note.GNU-stack","",@progbits
	.addrsig
	.addrsig_sym __hip_cuid_b50c546b5eb0113c
	.amdgpu_metadata
---
amdhsa.kernels:
  - .args:
      - .actual_access:  read_only
        .address_space:  global
        .offset:         0
        .size:           8
        .value_kind:     global_buffer
      - .offset:         8
        .size:           8
        .value_kind:     by_value
      - .actual_access:  read_only
        .address_space:  global
        .offset:         16
        .size:           8
        .value_kind:     global_buffer
      - .actual_access:  read_only
        .address_space:  global
        .offset:         24
        .size:           8
        .value_kind:     global_buffer
      - .actual_access:  read_only
        .address_space:  global
        .offset:         32
        .size:           8
        .value_kind:     global_buffer
      - .offset:         40
        .size:           8
        .value_kind:     by_value
      - .actual_access:  read_only
        .address_space:  global
        .offset:         48
        .size:           8
        .value_kind:     global_buffer
      - .actual_access:  read_only
        .address_space:  global
        .offset:         56
        .size:           8
        .value_kind:     global_buffer
      - .offset:         64
        .size:           4
        .value_kind:     by_value
      - .actual_access:  read_only
        .address_space:  global
        .offset:         72
        .size:           8
        .value_kind:     global_buffer
      - .actual_access:  read_only
        .address_space:  global
        .offset:         80
        .size:           8
        .value_kind:     global_buffer
      - .actual_access:  read_only
        .address_space:  global
        .offset:         88
        .size:           8
        .value_kind:     global_buffer
      - .actual_access:  write_only
        .address_space:  global
        .offset:         96
        .size:           8
        .value_kind:     global_buffer
    .group_segment_fixed_size: 0
    .kernarg_segment_align: 8
    .kernarg_segment_size: 104
    .language:       OpenCL C
    .language_version:
      - 2
      - 0
    .max_flat_workgroup_size: 51
    .name:           fft_rtc_back_len714_factors_3_17_7_2_wgs_51_tpt_51_halfLds_sp_op_CI_CI_unitstride_sbrr_R2C_dirReg
    .private_segment_fixed_size: 0
    .sgpr_count:     41
    .sgpr_spill_count: 0
    .symbol:         fft_rtc_back_len714_factors_3_17_7_2_wgs_51_tpt_51_halfLds_sp_op_CI_CI_unitstride_sbrr_R2C_dirReg.kd
    .uniform_work_group_size: 1
    .uses_dynamic_stack: false
    .vgpr_count:     195
    .vgpr_spill_count: 0
    .wavefront_size: 32
    .workgroup_processor_mode: 1
amdhsa.target:   amdgcn-amd-amdhsa--gfx1201
amdhsa.version:
  - 1
  - 2
...

	.end_amdgpu_metadata
